;; amdgpu-corpus repo=ROCm/rocFFT kind=compiled arch=gfx906 opt=O3
	.text
	.amdgcn_target "amdgcn-amd-amdhsa--gfx906"
	.amdhsa_code_object_version 6
	.protected	bluestein_single_back_len550_dim1_dp_op_CI_CI ; -- Begin function bluestein_single_back_len550_dim1_dp_op_CI_CI
	.globl	bluestein_single_back_len550_dim1_dp_op_CI_CI
	.p2align	8
	.type	bluestein_single_back_len550_dim1_dp_op_CI_CI,@function
bluestein_single_back_len550_dim1_dp_op_CI_CI: ; @bluestein_single_back_len550_dim1_dp_op_CI_CI
; %bb.0:
	s_load_dwordx4 s[0:3], s[4:5], 0x28
	v_mul_u32_u24_e32 v1, 0x4a8, v0
	v_add_u32_sdwa v116, s6, v1 dst_sel:DWORD dst_unused:UNUSED_PAD src0_sel:DWORD src1_sel:WORD_1
	v_mov_b32_e32 v117, 0
	s_waitcnt lgkmcnt(0)
	v_cmp_gt_u64_e32 vcc, s[0:1], v[116:117]
	s_and_saveexec_b64 s[0:1], vcc
	s_cbranch_execz .LBB0_15
; %bb.1:
	s_load_dwordx2 s[14:15], s[4:5], 0x0
	s_load_dwordx2 s[12:13], s[4:5], 0x38
	v_mov_b32_e32 v2, 55
	v_mul_lo_u16_sdwa v1, v1, v2 dst_sel:DWORD dst_unused:UNUSED_PAD src0_sel:WORD_1 src1_sel:DWORD
	v_sub_u16_e32 v130, v0, v1
	v_cmp_gt_u16_e64 s[0:1], 50, v130
	v_lshlrev_b32_e32 v129, 4, v130
	s_and_saveexec_b64 s[6:7], s[0:1]
	s_cbranch_execz .LBB0_3
; %bb.2:
	s_load_dwordx2 s[8:9], s[4:5], 0x18
	s_waitcnt lgkmcnt(0)
	s_load_dwordx4 s[8:11], s[8:9], 0x0
	s_waitcnt lgkmcnt(0)
	v_mad_u64_u32 v[0:1], s[16:17], s10, v116, 0
	v_mad_u64_u32 v[2:3], s[16:17], s8, v130, 0
	;; [unrolled: 1-line block ×4, first 2 shown]
	v_mov_b32_e32 v1, v4
	v_lshlrev_b64 v[0:1], 4, v[0:1]
	v_mov_b32_e32 v3, v5
	v_mov_b32_e32 v6, s3
	v_lshlrev_b64 v[2:3], 4, v[2:3]
	v_add_co_u32_e32 v0, vcc, s2, v0
	v_addc_co_u32_e32 v1, vcc, v6, v1, vcc
	v_add_co_u32_e32 v16, vcc, v0, v2
	v_addc_co_u32_e32 v17, vcc, v1, v3, vcc
	v_mov_b32_e32 v0, s15
	v_add_co_u32_e32 v54, vcc, s14, v129
	s_mul_i32 s2, s9, 0x320
	s_mul_hi_u32 s3, s8, 0x320
	v_addc_co_u32_e32 v55, vcc, 0, v0, vcc
	s_add_i32 s2, s3, s2
	s_mul_i32 s3, s8, 0x320
	v_mov_b32_e32 v0, s2
	v_add_co_u32_e32 v18, vcc, s3, v16
	v_addc_co_u32_e32 v19, vcc, v17, v0, vcc
	global_load_dwordx4 v[0:3], v[16:17], off
	global_load_dwordx4 v[4:7], v[18:19], off
	global_load_dwordx4 v[8:11], v129, s[14:15]
	global_load_dwordx4 v[12:15], v129, s[14:15] offset:800
	v_mov_b32_e32 v16, s2
	v_add_co_u32_e32 v32, vcc, s3, v18
	v_addc_co_u32_e32 v33, vcc, v19, v16, vcc
	v_add_co_u32_e32 v34, vcc, s3, v32
	v_addc_co_u32_e32 v35, vcc, v33, v16, vcc
	global_load_dwordx4 v[16:19], v[32:33], off
	global_load_dwordx4 v[20:23], v[34:35], off
	global_load_dwordx4 v[24:27], v129, s[14:15] offset:1600
	global_load_dwordx4 v[28:31], v129, s[14:15] offset:2400
	v_mov_b32_e32 v32, s2
	v_add_co_u32_e32 v36, vcc, s3, v34
	v_addc_co_u32_e32 v37, vcc, v35, v32, vcc
	v_mov_b32_e32 v38, s2
	v_add_co_u32_e32 v48, vcc, s3, v36
	v_addc_co_u32_e32 v49, vcc, v37, v38, vcc
	;; [unrolled: 3-line block ×3, first 2 shown]
	s_movk_i32 s8, 0x1000
	v_add_co_u32_e32 v88, vcc, s8, v54
	v_addc_co_u32_e32 v89, vcc, 0, v55, vcc
	v_mov_b32_e32 v54, s2
	v_add_co_u32_e32 v64, vcc, s3, v52
	v_addc_co_u32_e32 v65, vcc, v53, v54, vcc
	global_load_dwordx4 v[32:35], v[36:37], off
	v_mov_b32_e32 v66, s2
	v_add_co_u32_e32 v68, vcc, s3, v64
	global_load_dwordx4 v[36:39], v[48:49], off
	global_load_dwordx4 v[40:43], v129, s[14:15] offset:3200
	global_load_dwordx4 v[44:47], v129, s[14:15] offset:4000
	v_addc_co_u32_e32 v69, vcc, v65, v66, vcc
	global_load_dwordx4 v[48:51], v[52:53], off
	v_mov_b32_e32 v70, s2
	v_add_co_u32_e32 v80, vcc, s3, v68
	global_load_dwordx4 v[52:55], v[64:65], off
	global_load_dwordx4 v[56:59], v[88:89], off offset:704
	global_load_dwordx4 v[60:63], v[88:89], off offset:1504
	v_addc_co_u32_e32 v81, vcc, v69, v70, vcc
	global_load_dwordx4 v[64:67], v[68:69], off
	v_mov_b32_e32 v82, s2
	v_add_co_u32_e32 v90, vcc, s3, v80
	global_load_dwordx4 v[68:71], v[80:81], off
	global_load_dwordx4 v[72:75], v[88:89], off offset:2304
	global_load_dwordx4 v[76:79], v[88:89], off offset:3104
	v_addc_co_u32_e32 v91, vcc, v81, v82, vcc
	global_load_dwordx4 v[80:83], v[90:91], off
	global_load_dwordx4 v[84:87], v[88:89], off offset:3904
	s_waitcnt vmcnt(19)
	v_mul_f64 v[88:89], v[2:3], v[10:11]
	v_mul_f64 v[10:11], v[0:1], v[10:11]
	s_waitcnt vmcnt(18)
	v_mul_f64 v[90:91], v[6:7], v[14:15]
	v_mul_f64 v[14:15], v[4:5], v[14:15]
	v_fma_f64 v[0:1], v[0:1], v[8:9], v[88:89]
	v_fma_f64 v[2:3], v[2:3], v[8:9], -v[10:11]
	s_waitcnt vmcnt(15)
	v_mul_f64 v[92:93], v[18:19], v[26:27]
	v_mul_f64 v[26:27], v[16:17], v[26:27]
	v_fma_f64 v[4:5], v[4:5], v[12:13], v[90:91]
	v_fma_f64 v[6:7], v[6:7], v[12:13], -v[14:15]
	v_fma_f64 v[8:9], v[16:17], v[24:25], v[92:93]
	v_fma_f64 v[10:11], v[18:19], v[24:25], -v[26:27]
	ds_write_b128 v129, v[0:3]
	ds_write_b128 v129, v[4:7] offset:800
	ds_write_b128 v129, v[8:11] offset:1600
	s_waitcnt vmcnt(14)
	v_mul_f64 v[0:1], v[22:23], v[30:31]
	v_mul_f64 v[2:3], v[20:21], v[30:31]
	v_fma_f64 v[0:1], v[20:21], v[28:29], v[0:1]
	v_fma_f64 v[2:3], v[22:23], v[28:29], -v[2:3]
	s_waitcnt vmcnt(11)
	v_mul_f64 v[4:5], v[34:35], v[42:43]
	v_mul_f64 v[6:7], v[32:33], v[42:43]
	s_waitcnt vmcnt(10)
	v_mul_f64 v[8:9], v[38:39], v[46:47]
	v_mul_f64 v[10:11], v[36:37], v[46:47]
	;; [unrolled: 3-line block ×4, first 2 shown]
	v_fma_f64 v[4:5], v[32:33], v[40:41], v[4:5]
	v_fma_f64 v[6:7], v[34:35], v[40:41], -v[6:7]
	v_fma_f64 v[8:9], v[36:37], v[44:45], v[8:9]
	s_waitcnt vmcnt(3)
	v_mul_f64 v[20:21], v[66:67], v[74:75]
	v_mul_f64 v[22:23], v[64:65], v[74:75]
	s_waitcnt vmcnt(2)
	v_mul_f64 v[24:25], v[70:71], v[78:79]
	v_mul_f64 v[26:27], v[68:69], v[78:79]
	;; [unrolled: 3-line block ×3, first 2 shown]
	v_fma_f64 v[10:11], v[38:39], v[44:45], -v[10:11]
	v_fma_f64 v[12:13], v[48:49], v[56:57], v[12:13]
	v_fma_f64 v[14:15], v[50:51], v[56:57], -v[14:15]
	v_fma_f64 v[16:17], v[52:53], v[60:61], v[16:17]
	;; [unrolled: 2-line block ×5, first 2 shown]
	v_fma_f64 v[30:31], v[82:83], v[84:85], -v[30:31]
	ds_write_b128 v129, v[0:3] offset:2400
	ds_write_b128 v129, v[4:7] offset:3200
	;; [unrolled: 1-line block ×8, first 2 shown]
.LBB0_3:
	s_or_b64 exec, exec, s[6:7]
	s_load_dwordx2 s[6:7], s[4:5], 0x20
	s_load_dwordx2 s[2:3], s[4:5], 0x8
	s_waitcnt lgkmcnt(0)
	; wave barrier
	s_waitcnt lgkmcnt(0)
                                        ; implicit-def: $vgpr4_vgpr5
                                        ; implicit-def: $vgpr40_vgpr41
                                        ; implicit-def: $vgpr44_vgpr45
                                        ; implicit-def: $vgpr28_vgpr29
                                        ; implicit-def: $vgpr32_vgpr33
                                        ; implicit-def: $vgpr36_vgpr37
                                        ; implicit-def: $vgpr24_vgpr25
                                        ; implicit-def: $vgpr8_vgpr9
                                        ; implicit-def: $vgpr12_vgpr13
                                        ; implicit-def: $vgpr16_vgpr17
                                        ; implicit-def: $vgpr20_vgpr21
	s_and_saveexec_b64 s[4:5], s[0:1]
	s_cbranch_execz .LBB0_5
; %bb.4:
	ds_read_b128 v[4:7], v129
	ds_read_b128 v[40:43], v129 offset:800
	ds_read_b128 v[44:47], v129 offset:1600
	;; [unrolled: 1-line block ×10, first 2 shown]
.LBB0_5:
	s_or_b64 exec, exec, s[4:5]
	s_waitcnt lgkmcnt(0)
	v_add_f64 v[90:91], v[42:43], -v[22:23]
	v_add_f64 v[86:87], v[40:41], -v[20:21]
	s_mov_b32 s8, 0xf8bb580b
	s_mov_b32 s9, 0xbfe14ced
	v_add_f64 v[54:55], v[40:41], v[20:21]
	v_add_f64 v[62:63], v[42:43], v[22:23]
	v_add_f64 v[98:99], v[46:47], -v[18:19]
	v_add_f64 v[94:95], v[44:45], -v[16:17]
	v_mul_f64 v[52:53], v[90:91], s[8:9]
	v_mul_f64 v[56:57], v[86:87], s[8:9]
	s_mov_b32 s4, 0x8764f0ba
	s_mov_b32 s28, 0x8eee2c13
	;; [unrolled: 1-line block ×4, first 2 shown]
	v_add_f64 v[48:49], v[44:45], v[16:17]
	v_add_f64 v[68:69], v[46:47], v[18:19]
	v_fma_f64 v[0:1], v[54:55], s[4:5], v[52:53]
	v_fma_f64 v[2:3], v[62:63], s[4:5], -v[56:57]
	v_mul_f64 v[50:51], v[98:99], s[28:29]
	v_mul_f64 v[58:59], v[94:95], s[28:29]
	v_add_f64 v[100:101], v[30:31], -v[14:15]
	v_add_f64 v[102:103], v[28:29], -v[12:13]
	s_mov_b32 s18, 0xd9c712b6
	s_mov_b32 s26, 0x43842ef
	s_mov_b32 s19, 0x3fda9628
	s_mov_b32 s27, 0xbfefac9e
	v_add_f64 v[0:1], v[4:5], v[0:1]
	v_add_f64 v[2:3], v[6:7], v[2:3]
	v_fma_f64 v[70:71], v[48:49], s[18:19], v[50:51]
	v_fma_f64 v[74:75], v[68:69], s[18:19], -v[58:59]
	v_add_f64 v[60:61], v[28:29], v[12:13]
	v_add_f64 v[72:73], v[30:31], v[14:15]
	v_mul_f64 v[64:65], v[100:101], s[26:27]
	v_mul_f64 v[66:67], v[102:103], s[26:27]
	v_add_f64 v[80:81], v[34:35], -v[10:11]
	v_add_f64 v[106:107], v[32:33], -v[8:9]
	s_mov_b32 s16, 0x640f44db
	s_mov_b32 s20, 0xbb3a28a1
	s_mov_b32 s17, 0xbfc2375f
	s_mov_b32 s21, 0xbfe82f19
	v_add_f64 v[0:1], v[70:71], v[0:1]
	v_add_f64 v[2:3], v[74:75], v[2:3]
	v_fma_f64 v[78:79], v[60:61], s[16:17], v[64:65]
	v_fma_f64 v[84:85], v[72:73], s[16:17], -v[66:67]
	v_add_f64 v[70:71], v[32:33], v[8:9]
	v_add_f64 v[82:83], v[34:35], v[10:11]
	;; [unrolled: 14-line block ×3, first 2 shown]
	v_mul_f64 v[84:85], v[92:93], s[30:31]
	v_mul_f64 v[88:89], v[104:105], s[30:31]
	s_mov_b32 s24, 0x9bcd5057
	s_mov_b32 s25, 0xbfeeb42a
	v_add_f64 v[0:1], v[108:109], v[0:1]
	v_add_f64 v[2:3], v[110:111], v[2:3]
	v_mul_lo_u16_e32 v131, 11, v130
	v_fma_f64 v[108:109], v[78:79], s[24:25], v[84:85]
	v_fma_f64 v[110:111], v[96:97], s[24:25], -v[88:89]
	; wave barrier
	v_add_f64 v[0:1], v[108:109], v[0:1]
	v_add_f64 v[2:3], v[110:111], v[2:3]
	s_and_saveexec_b64 s[10:11], s[0:1]
	s_cbranch_execz .LBB0_7
; %bb.6:
	v_mul_f64 v[108:109], v[62:63], s[24:25]
	s_mov_b32 s39, 0x3fd207e7
	s_mov_b32 s38, s30
	v_mul_f64 v[110:111], v[90:91], s[30:31]
	v_mul_f64 v[112:113], v[68:69], s[4:5]
	s_mov_b32 s35, 0x3fe14ced
	s_mov_b32 s34, s8
	v_mul_f64 v[114:115], v[98:99], s[34:35]
	v_fma_f64 v[117:118], v[86:87], s[38:39], v[108:109]
	v_mul_f64 v[121:122], v[72:73], s[22:23]
	s_mov_b32 s37, 0x3fe82f19
	v_fma_f64 v[119:120], v[54:55], s[24:25], v[110:111]
	v_fma_f64 v[125:126], v[94:95], s[8:9], v[112:113]
	s_mov_b32 s36, s20
	v_mul_f64 v[123:124], v[100:101], s[20:21]
	v_fma_f64 v[127:128], v[48:49], s[4:5], v[114:115]
	v_add_f64 v[117:118], v[6:7], v[117:118]
	v_mul_f64 v[132:133], v[82:83], s[18:19]
	v_fma_f64 v[134:135], v[102:103], s[36:37], v[121:122]
	v_add_f64 v[119:120], v[4:5], v[119:120]
	v_fma_f64 v[108:109], v[86:87], s[30:31], v[108:109]
	v_fma_f64 v[110:111], v[54:55], s[24:25], -v[110:111]
	s_mov_b32 s43, 0x3fed1bb4
	s_mov_b32 s42, s28
	v_add_f64 v[117:118], v[125:126], v[117:118]
	v_fma_f64 v[136:137], v[60:61], s[22:23], v[123:124]
	v_mul_f64 v[125:126], v[80:81], s[42:43]
	v_add_f64 v[119:120], v[127:128], v[119:120]
	v_fma_f64 v[112:113], v[94:95], s[34:35], v[112:113]
	v_add_f64 v[108:109], v[6:7], v[108:109]
	v_fma_f64 v[114:115], v[48:49], s[4:5], -v[114:115]
	v_add_f64 v[110:111], v[4:5], v[110:111]
	v_fma_f64 v[127:128], v[106:107], s[28:29], v[132:133]
	v_add_f64 v[117:118], v[134:135], v[117:118]
	v_mul_f64 v[134:135], v[96:97], s[16:17]
	v_fma_f64 v[121:122], v[102:103], s[20:21], v[121:122]
	v_fma_f64 v[138:139], v[70:71], s[18:19], v[125:126]
	v_add_f64 v[108:109], v[112:113], v[108:109]
	v_add_f64 v[112:113], v[136:137], v[119:120]
	;; [unrolled: 1-line block ×3, first 2 shown]
	s_mov_b32 s41, 0x3fefac9e
	v_add_f64 v[114:115], v[127:128], v[117:118]
	v_fma_f64 v[117:118], v[60:61], s[22:23], -v[123:124]
	v_mul_f64 v[123:124], v[62:63], s[22:23]
	s_mov_b32 s40, s26
	v_fma_f64 v[119:120], v[104:105], s[40:41], v[134:135]
	v_mul_f64 v[127:128], v[92:93], s[26:27]
	v_add_f64 v[108:109], v[121:122], v[108:109]
	v_fma_f64 v[121:122], v[106:107], s[42:43], v[132:133]
	v_fma_f64 v[125:126], v[70:71], s[18:19], -v[125:126]
	v_add_f64 v[117:118], v[117:118], v[110:111]
	v_mul_f64 v[132:133], v[90:91], s[20:21]
	v_add_f64 v[112:113], v[138:139], v[112:113]
	v_fma_f64 v[136:137], v[86:87], s[36:37], v[123:124]
	v_mul_f64 v[138:139], v[68:69], s[16:17]
	v_add_f64 v[110:111], v[119:120], v[114:115]
	v_fma_f64 v[114:115], v[78:79], s[16:17], v[127:128]
	v_add_f64 v[119:120], v[121:122], v[108:109]
	v_add_f64 v[117:118], v[125:126], v[117:118]
	v_fma_f64 v[121:122], v[54:55], s[22:23], v[132:133]
	v_mul_f64 v[125:126], v[98:99], s[40:41]
	v_add_f64 v[136:137], v[6:7], v[136:137]
	v_fma_f64 v[140:141], v[94:95], s[26:27], v[138:139]
	v_mul_f64 v[142:143], v[72:73], s[4:5]
	v_fma_f64 v[134:135], v[104:105], s[26:27], v[134:135]
	v_fma_f64 v[127:128], v[78:79], s[16:17], -v[127:128]
	v_add_f64 v[108:109], v[114:115], v[112:113]
	v_add_f64 v[121:122], v[4:5], v[121:122]
	v_fma_f64 v[144:145], v[48:49], s[16:17], v[125:126]
	v_mul_f64 v[146:147], v[100:101], s[8:9]
	v_add_f64 v[136:137], v[140:141], v[136:137]
	v_fma_f64 v[140:141], v[102:103], s[34:35], v[142:143]
	v_add_f64 v[114:115], v[134:135], v[119:120]
	v_fma_f64 v[119:120], v[86:87], s[20:21], v[123:124]
	v_add_f64 v[112:113], v[127:128], v[117:118]
	v_mul_f64 v[117:118], v[82:83], s[24:25]
	v_add_f64 v[121:122], v[144:145], v[121:122]
	v_fma_f64 v[123:124], v[60:61], s[4:5], v[146:147]
	v_fma_f64 v[132:133], v[54:55], s[22:23], -v[132:133]
	v_add_f64 v[127:128], v[140:141], v[136:137]
	v_mul_f64 v[134:135], v[80:81], s[30:31]
	v_fma_f64 v[136:137], v[94:95], s[40:41], v[138:139]
	v_add_f64 v[119:120], v[6:7], v[119:120]
	v_fma_f64 v[138:139], v[106:107], s[38:39], v[117:118]
	v_fma_f64 v[125:126], v[48:49], s[16:17], -v[125:126]
	v_add_f64 v[121:122], v[123:124], v[121:122]
	v_mul_f64 v[123:124], v[96:97], s[18:19]
	v_add_f64 v[132:133], v[4:5], v[132:133]
	v_fma_f64 v[140:141], v[70:71], s[24:25], v[134:135]
	v_mul_f64 v[144:145], v[92:93], s[42:43]
	v_add_f64 v[119:120], v[136:137], v[119:120]
	v_fma_f64 v[136:137], v[102:103], s[8:9], v[142:143]
	v_add_f64 v[42:43], v[6:7], v[42:43]
	v_add_f64 v[40:41], v[4:5], v[40:41]
	;; [unrolled: 1-line block ×3, first 2 shown]
	v_fma_f64 v[138:139], v[104:105], s[28:29], v[123:124]
	v_add_f64 v[125:126], v[125:126], v[132:133]
	v_fma_f64 v[132:133], v[60:61], s[4:5], -v[146:147]
	v_add_f64 v[121:122], v[140:141], v[121:122]
	v_fma_f64 v[140:141], v[78:79], s[18:19], v[144:145]
	v_add_f64 v[119:120], v[136:137], v[119:120]
	v_fma_f64 v[117:118], v[106:107], s[30:31], v[117:118]
	v_add_f64 v[46:47], v[42:43], v[46:47]
	v_add_f64 v[44:45], v[40:41], v[44:45]
	;; [unrolled: 1-line block ×4, first 2 shown]
	v_fma_f64 v[127:128], v[70:71], s[24:25], -v[134:135]
	v_add_f64 v[40:41], v[140:141], v[121:122]
	v_mul_f64 v[121:122], v[62:63], s[16:17]
	v_add_f64 v[117:118], v[117:118], v[119:120]
	v_fma_f64 v[119:120], v[104:105], s[42:43], v[123:124]
	v_mul_f64 v[123:124], v[90:91], s[26:27]
	v_add_f64 v[46:47], v[46:47], v[30:31]
	v_add_f64 v[28:29], v[44:45], v[28:29]
	;; [unrolled: 1-line block ×3, first 2 shown]
	v_mul_f64 v[125:126], v[68:69], s[24:25]
	v_fma_f64 v[127:128], v[86:87], s[40:41], v[121:122]
	v_fma_f64 v[132:133], v[78:79], s[18:19], -v[144:145]
	v_add_f64 v[30:31], v[119:120], v[117:118]
	v_fma_f64 v[117:118], v[54:55], s[16:17], v[123:124]
	v_mul_f64 v[119:120], v[98:99], s[38:39]
	v_add_f64 v[34:35], v[46:47], v[34:35]
	v_add_f64 v[32:33], v[28:29], v[32:33]
	v_fma_f64 v[46:47], v[94:95], s[30:31], v[125:126]
	v_add_f64 v[127:128], v[6:7], v[127:128]
	v_mul_f64 v[134:135], v[72:73], s[18:19]
	v_add_f64 v[28:29], v[132:133], v[44:45]
	v_add_f64 v[44:45], v[4:5], v[117:118]
	v_fma_f64 v[117:118], v[48:49], s[24:25], v[119:120]
	v_mul_f64 v[132:133], v[100:101], s[42:43]
	v_add_f64 v[34:35], v[34:35], v[38:39]
	v_add_f64 v[32:33], v[32:33], v[36:37]
	v_add_f64 v[36:37], v[46:47], v[127:128]
	v_fma_f64 v[38:39], v[102:103], s[28:29], v[134:135]
	v_fma_f64 v[46:47], v[86:87], s[26:27], v[121:122]
	v_mul_f64 v[121:122], v[82:83], s[4:5]
	v_add_f64 v[44:45], v[117:118], v[44:45]
	v_fma_f64 v[117:118], v[60:61], s[18:19], v[132:133]
	v_mul_f64 v[127:128], v[80:81], s[8:9]
	v_add_f64 v[26:27], v[34:35], v[26:27]
	v_fma_f64 v[34:35], v[94:95], s[38:39], v[125:126]
	v_fma_f64 v[123:124], v[54:55], s[16:17], -v[123:124]
	v_add_f64 v[46:47], v[6:7], v[46:47]
	v_add_f64 v[36:37], v[38:39], v[36:37]
	v_fma_f64 v[38:39], v[106:107], s[34:35], v[121:122]
	v_add_f64 v[44:45], v[117:118], v[44:45]
	v_fma_f64 v[117:118], v[70:71], s[4:5], v[127:128]
	v_mul_f64 v[125:126], v[62:63], s[18:19]
	v_fma_f64 v[119:120], v[48:49], s[24:25], -v[119:120]
	v_add_f64 v[123:124], v[4:5], v[123:124]
	v_add_f64 v[34:35], v[34:35], v[46:47]
	v_fma_f64 v[46:47], v[102:103], s[42:43], v[134:135]
	v_add_f64 v[32:33], v[32:33], v[24:25]
	v_add_f64 v[24:25], v[38:39], v[36:37]
	v_add_f64 v[36:37], v[117:118], v[44:45]
	v_fma_f64 v[38:39], v[86:87], s[42:43], v[125:126]
	v_mul_f64 v[44:45], v[68:69], s[22:23]
	v_add_f64 v[117:118], v[119:120], v[123:124]
	v_fma_f64 v[119:120], v[60:61], s[18:19], -v[132:133]
	v_add_f64 v[34:35], v[46:47], v[34:35]
	v_mul_f64 v[46:47], v[90:91], s[28:29]
	v_fma_f64 v[90:91], v[106:107], s[8:9], v[121:122]
	v_fma_f64 v[86:87], v[86:87], s[28:29], v[125:126]
	v_add_f64 v[38:39], v[6:7], v[38:39]
	v_fma_f64 v[121:122], v[94:95], s[36:37], v[44:45]
	v_mul_f64 v[123:124], v[72:73], s[24:25]
	v_add_f64 v[117:118], v[119:120], v[117:118]
	v_mul_f64 v[98:99], v[98:99], s[20:21]
	v_fma_f64 v[119:120], v[54:55], s[18:19], v[46:47]
	v_fma_f64 v[44:45], v[94:95], s[20:21], v[44:45]
	v_add_f64 v[86:87], v[6:7], v[86:87]
	v_fma_f64 v[125:126], v[70:71], s[4:5], -v[127:128]
	v_add_f64 v[38:39], v[121:122], v[38:39]
	v_fma_f64 v[94:95], v[102:103], s[30:31], v[123:124]
	v_mul_f64 v[121:122], v[82:83], s[16:17]
	v_fma_f64 v[127:128], v[48:49], s[22:23], v[98:99]
	v_add_f64 v[119:120], v[4:5], v[119:120]
	v_fma_f64 v[102:103], v[102:103], s[38:39], v[123:124]
	v_add_f64 v[44:45], v[44:45], v[86:87]
	v_mul_f64 v[62:63], v[62:63], s[4:5]
	v_fma_f64 v[46:47], v[54:55], s[18:19], -v[46:47]
	v_add_f64 v[38:39], v[94:95], v[38:39]
	v_fma_f64 v[86:87], v[106:107], s[26:27], v[121:122]
	v_fma_f64 v[106:107], v[106:107], s[40:41], v[121:122]
	v_add_f64 v[94:95], v[127:128], v[119:120]
	v_mul_f64 v[119:120], v[96:97], s[4:5]
	v_add_f64 v[44:45], v[102:103], v[44:45]
	v_mul_f64 v[102:103], v[96:97], s[22:23]
	v_add_f64 v[56:57], v[56:57], v[62:63]
	v_mul_f64 v[72:73], v[72:73], s[16:17]
	v_add_f64 v[38:39], v[86:87], v[38:39]
	v_mul_f64 v[86:87], v[54:55], s[4:5]
	v_mul_f64 v[54:55], v[68:69], s[18:19]
	v_mul_f64 v[100:101], v[100:101], s[38:39]
	v_add_f64 v[44:45], v[106:107], v[44:45]
	v_fma_f64 v[62:63], v[104:105], s[36:37], v[102:103]
	v_fma_f64 v[68:69], v[104:105], s[20:21], v[102:103]
	;; [unrolled: 1-line block ×3, first 2 shown]
	v_mul_f64 v[106:107], v[60:61], s[16:17]
	v_add_f64 v[52:53], v[86:87], -v[52:53]
	v_fma_f64 v[86:87], v[104:105], s[8:9], v[119:120]
	v_mul_f64 v[104:105], v[48:49], s[18:19]
	v_add_f64 v[56:57], v[6:7], v[56:57]
	v_add_f64 v[54:55], v[58:59], v[54:55]
	v_fma_f64 v[48:49], v[48:49], s[22:23], -v[98:99]
	v_add_f64 v[10:11], v[26:27], v[10:11]
	v_add_f64 v[8:9], v[32:33], v[8:9]
	;; [unrolled: 1-line block ×4, first 2 shown]
	v_add_f64 v[50:51], v[104:105], -v[50:51]
	v_mul_f64 v[46:47], v[70:71], s[22:23]
	v_mul_f64 v[58:59], v[82:83], s[22:23]
	v_add_f64 v[66:67], v[66:67], v[72:73]
	v_add_f64 v[54:55], v[54:55], v[56:57]
	v_add_f64 v[56:57], v[106:107], -v[64:65]
	v_add_f64 v[34:35], v[90:91], v[34:35]
	v_add_f64 v[90:91], v[125:126], v[117:118]
	v_add_f64 v[26:27], v[50:51], v[52:53]
	v_fma_f64 v[117:118], v[60:61], s[24:25], v[100:101]
	v_mul_f64 v[80:81], v[80:81], s[40:41]
	v_fma_f64 v[60:61], v[60:61], s[24:25], -v[100:101]
	v_add_f64 v[4:5], v[48:49], v[4:5]
	v_add_f64 v[10:11], v[10:11], v[14:15]
	;; [unrolled: 1-line block ×3, first 2 shown]
	v_mul_f64 v[82:83], v[78:79], s[24:25]
	v_mul_f64 v[96:97], v[96:97], s[24:25]
	v_add_f64 v[48:49], v[76:77], v[58:59]
	v_add_f64 v[50:51], v[66:67], v[54:55]
	v_add_f64 v[46:47], v[46:47], -v[74:75]
	v_add_f64 v[12:13], v[56:57], v[26:27]
	v_add_f64 v[6:7], v[62:63], v[24:25]
	;; [unrolled: 1-line block ×3, first 2 shown]
	v_mul_f64 v[68:69], v[92:93], s[34:35]
	v_fma_f64 v[32:33], v[70:71], s[16:17], -v[80:81]
	v_add_f64 v[4:5], v[60:61], v[4:5]
	v_add_f64 v[94:95], v[117:118], v[94:95]
	v_mul_f64 v[117:118], v[92:93], s[20:21]
	v_fma_f64 v[92:93], v[70:71], s[16:17], v[80:81]
	v_add_f64 v[18:19], v[10:11], v[18:19]
	v_add_f64 v[8:9], v[8:9], v[16:17]
	;; [unrolled: 1-line block ×4, first 2 shown]
	v_add_f64 v[50:51], v[82:83], -v[84:85]
	v_add_f64 v[12:13], v[46:47], v[12:13]
	v_fma_f64 v[26:27], v[78:79], s[4:5], -v[68:69]
	v_add_f64 v[4:5], v[32:33], v[4:5]
	v_fma_f64 v[34:35], v[78:79], s[22:23], -v[117:118]
	v_fma_f64 v[62:63], v[78:79], s[22:23], v[117:118]
	v_fma_f64 v[32:33], v[78:79], s[4:5], v[68:69]
	v_add_f64 v[46:47], v[92:93], v[94:95]
	v_add_f64 v[18:19], v[18:19], v[22:23]
	;; [unrolled: 1-line block ×8, first 2 shown]
	v_lshlrev_b32_e32 v20, 4, v131
	v_add_f64 v[4:5], v[62:63], v[36:37]
	v_add_f64 v[34:35], v[86:87], v[38:39]
	;; [unrolled: 1-line block ×3, first 2 shown]
	ds_write_b128 v20, v[16:19]
	ds_write_b128 v20, v[12:15] offset:16
	ds_write_b128 v20, v[8:11] offset:32
	;; [unrolled: 1-line block ×10, first 2 shown]
.LBB0_7:
	s_or_b64 exec, exec, s[10:11]
	s_movk_i32 s4, 0x75
	v_mul_lo_u16_sdwa v4, v130, s4 dst_sel:DWORD dst_unused:UNUSED_PAD src0_sel:BYTE_0 src1_sel:DWORD
	v_sub_u16_sdwa v5, v130, v4 dst_sel:DWORD dst_unused:UNUSED_PAD src0_sel:DWORD src1_sel:BYTE_1
	v_lshrrev_b16_e32 v5, 1, v5
	v_and_b32_e32 v5, 0x7f, v5
	v_add_u16_sdwa v4, v5, v4 dst_sel:DWORD dst_unused:UNUSED_PAD src0_sel:DWORD src1_sel:BYTE_1
	v_lshrrev_b16_e32 v115, 3, v4
	v_mul_lo_u16_e32 v4, 11, v115
	v_sub_u16_e32 v4, v130, v4
	v_and_b32_e32 v132, 0xff, v4
	v_mov_b32_e32 v5, s3
	s_movk_i32 s4, 0x90
	v_mov_b32_e32 v4, s2
	v_mad_u64_u32 v[40:41], s[4:5], v132, s4, v[4:5]
	s_load_dwordx4 s[4:7], s[6:7], 0x0
	s_waitcnt lgkmcnt(0)
	; wave barrier
	s_waitcnt lgkmcnt(0)
	global_load_dwordx4 v[20:23], v[40:41], off
	global_load_dwordx4 v[12:15], v[40:41], off offset:16
	global_load_dwordx4 v[8:11], v[40:41], off offset:32
	;; [unrolled: 1-line block ×8, first 2 shown]
	ds_read_b128 v[40:43], v129
	ds_read_b128 v[45:48], v129 offset:880
	ds_read_b128 v[49:52], v129 offset:1760
	;; [unrolled: 1-line block ×9, first 2 shown]
	s_mov_b32 s16, 0x134454ff
	s_mov_b32 s17, 0x3fee6f0e
	;; [unrolled: 1-line block ×12, first 2 shown]
	v_lshlrev_b32_e32 v44, 6, v130
	s_waitcnt lgkmcnt(0)
	; wave barrier
	s_waitcnt vmcnt(8) lgkmcnt(0)
	v_mul_f64 v[81:82], v[47:48], v[22:23]
	s_waitcnt vmcnt(7)
	v_mul_f64 v[85:86], v[51:52], v[14:15]
	v_mul_f64 v[87:88], v[49:50], v[14:15]
	s_waitcnt vmcnt(5)
	v_mul_f64 v[93:94], v[59:60], v[6:7]
	;; [unrolled: 3-line block ×4, first 2 shown]
	v_mul_f64 v[83:84], v[45:46], v[22:23]
	v_mul_f64 v[89:90], v[55:56], v[10:11]
	;; [unrolled: 1-line block ×7, first 2 shown]
	v_fma_f64 v[49:50], v[49:50], v[12:13], -v[85:86]
	v_fma_f64 v[51:52], v[51:52], v[12:13], v[87:88]
	v_fma_f64 v[57:58], v[57:58], v[4:5], -v[93:94]
	v_fma_f64 v[59:60], v[59:60], v[4:5], v[95:96]
	;; [unrolled: 2-line block ×3, first 2 shown]
	v_fma_f64 v[73:74], v[73:74], v[28:29], -v[109:110]
	v_mul_f64 v[107:108], v[69:70], v[18:19]
	s_waitcnt vmcnt(0)
	v_mul_f64 v[117:118], v[77:78], v[38:39]
	v_fma_f64 v[45:46], v[45:46], v[20:21], -v[81:82]
	v_fma_f64 v[47:48], v[47:48], v[20:21], v[83:84]
	v_fma_f64 v[53:54], v[53:54], v[8:9], -v[89:90]
	v_fma_f64 v[55:56], v[55:56], v[8:9], v[91:92]
	;; [unrolled: 2-line block ×3, first 2 shown]
	v_fma_f64 v[75:76], v[75:76], v[28:29], v[111:112]
	v_fma_f64 v[69:70], v[69:70], v[16:17], -v[105:106]
	v_add_f64 v[81:82], v[40:41], v[49:50]
	v_add_f64 v[83:84], v[57:58], v[65:66]
	v_add_f64 v[89:90], v[49:50], -v[57:58]
	v_add_f64 v[91:92], v[73:74], -v[65:66]
	v_add_f64 v[93:94], v[49:50], v[73:74]
	v_add_f64 v[99:100], v[42:43], v[51:52]
	;; [unrolled: 1-line block ×3, first 2 shown]
	v_mul_f64 v[113:114], v[79:80], v[38:39]
	v_fma_f64 v[79:80], v[79:80], v[36:37], v[117:118]
	v_add_f64 v[85:86], v[51:52], -v[75:76]
	v_add_f64 v[87:88], v[59:60], -v[67:68]
	;; [unrolled: 1-line block ×7, first 2 shown]
	v_add_f64 v[109:110], v[51:52], v[75:76]
	v_add_f64 v[51:52], v[59:60], -v[51:52]
	v_add_f64 v[117:118], v[61:62], v[69:70]
	v_add_f64 v[57:58], v[81:82], v[57:58]
	v_fma_f64 v[81:82], v[83:84], -0.5, v[40:41]
	v_add_f64 v[83:84], v[89:90], v[91:92]
	v_fma_f64 v[40:41], v[93:94], -0.5, v[40:41]
	;; [unrolled: 2-line block ×3, first 2 shown]
	v_fma_f64 v[71:72], v[71:72], v[16:17], v[107:108]
	v_fma_f64 v[77:78], v[77:78], v[36:37], -v[113:114]
	v_add_f64 v[107:108], v[75:76], -v[67:68]
	v_add_f64 v[111:112], v[67:68], -v[75:76]
	v_add_f64 v[113:114], v[45:46], v[53:54]
	v_add_f64 v[119:120], v[55:56], -v[79:80]
	v_add_f64 v[89:90], v[95:96], v[97:98]
	v_fma_f64 v[42:43], v[109:110], -0.5, v[42:43]
	v_fma_f64 v[97:98], v[117:118], -0.5, v[45:46]
	v_add_f64 v[57:58], v[57:58], v[65:66]
	v_fma_f64 v[65:66], v[85:86], s[16:17], v[81:82]
	v_fma_f64 v[81:82], v[85:86], s[20:21], v[81:82]
	;; [unrolled: 1-line block ×4, first 2 shown]
	v_add_f64 v[59:60], v[59:60], v[67:68]
	v_fma_f64 v[67:68], v[49:50], s[20:21], v[91:92]
	v_fma_f64 v[91:92], v[49:50], s[16:17], v[91:92]
	v_add_f64 v[121:122], v[63:64], -v[71:72]
	v_add_f64 v[123:124], v[53:54], -v[61:62]
	;; [unrolled: 1-line block ×3, first 2 shown]
	v_add_f64 v[127:128], v[53:54], v[77:78]
	v_add_f64 v[93:94], v[105:106], v[107:108]
	;; [unrolled: 1-line block ×3, first 2 shown]
	v_fma_f64 v[101:102], v[103:104], s[16:17], v[42:43]
	v_fma_f64 v[42:43], v[103:104], s[20:21], v[42:43]
	;; [unrolled: 1-line block ×7, first 2 shown]
	v_add_f64 v[73:74], v[57:58], v[73:74]
	v_fma_f64 v[57:58], v[103:104], s[8:9], v[91:92]
	v_fma_f64 v[67:68], v[103:104], s[18:19], v[67:68]
	v_add_f64 v[75:76], v[59:60], v[75:76]
	v_fma_f64 v[65:66], v[83:84], s[10:11], v[65:66]
	v_fma_f64 v[81:82], v[83:84], s[10:11], v[81:82]
	;; [unrolled: 1-line block ×5, first 2 shown]
	v_add_f64 v[51:52], v[51:52], v[111:112]
	v_fma_f64 v[87:88], v[93:94], s[10:11], v[57:58]
	v_fma_f64 v[45:46], v[127:128], -0.5, v[45:46]
	v_fma_f64 v[42:43], v[49:50], s[8:9], v[42:43]
	v_add_f64 v[49:50], v[95:96], v[69:70]
	v_fma_f64 v[57:58], v[121:122], s[8:9], v[105:106]
	v_add_f64 v[59:60], v[123:124], v[125:126]
	v_add_f64 v[89:90], v[63:64], v[71:72]
	v_fma_f64 v[67:68], v[93:94], s[10:11], v[67:68]
	v_fma_f64 v[91:92], v[51:52], s[10:11], v[40:41]
	;; [unrolled: 1-line block ×5, first 2 shown]
	v_add_f64 v[97:98], v[49:50], v[77:78]
	v_add_f64 v[42:43], v[55:56], v[79:80]
	v_fma_f64 v[49:50], v[59:60], s[10:11], v[57:58]
	v_fma_f64 v[51:52], v[89:90], -0.5, v[47:48]
	v_add_f64 v[57:58], v[53:54], -v[77:78]
	v_add_f64 v[99:100], v[61:62], -v[69:70]
	v_fma_f64 v[89:90], v[119:120], s[8:9], v[93:94]
	v_add_f64 v[93:94], v[47:48], v[55:56]
	v_fma_f64 v[45:46], v[121:122], s[16:17], v[45:46]
	v_fma_f64 v[42:43], v[42:43], -0.5, v[47:48]
	v_add_f64 v[47:48], v[61:62], -v[53:54]
	v_add_f64 v[53:54], v[69:70], -v[77:78]
	v_fma_f64 v[61:62], v[57:58], s[20:21], v[51:52]
	v_add_f64 v[69:70], v[55:56], -v[63:64]
	v_add_f64 v[77:78], v[79:80], -v[71:72]
	v_fma_f64 v[51:52], v[57:58], s[16:17], v[51:52]
	v_add_f64 v[93:94], v[93:94], v[63:64]
	v_fma_f64 v[101:102], v[99:100], s[16:17], v[42:43]
	v_add_f64 v[55:56], v[63:64], -v[55:56]
	v_add_f64 v[63:64], v[71:72], -v[79:80]
	v_fma_f64 v[61:62], v[99:100], s[18:19], v[61:62]
	v_fma_f64 v[42:43], v[99:100], s[20:21], v[42:43]
	v_add_f64 v[69:70], v[69:70], v[77:78]
	v_fma_f64 v[40:41], v[121:122], s[18:19], v[40:41]
	v_add_f64 v[47:48], v[47:48], v[53:54]
	v_fma_f64 v[45:46], v[119:120], s[18:19], v[45:46]
	v_fma_f64 v[51:52], v[99:100], s[8:9], v[51:52]
	;; [unrolled: 1-line block ×3, first 2 shown]
	v_add_f64 v[55:56], v[55:56], v[63:64]
	v_fma_f64 v[42:43], v[57:58], s[8:9], v[42:43]
	v_fma_f64 v[61:62], v[69:70], s[10:11], v[61:62]
	;; [unrolled: 1-line block ×6, first 2 shown]
	v_add_f64 v[63:64], v[93:94], v[71:72]
	v_fma_f64 v[53:54], v[55:56], s[10:11], v[53:54]
	v_fma_f64 v[42:43], v[55:56], s[10:11], v[42:43]
	v_mul_f64 v[51:52], v[61:62], s[8:9]
	v_mul_f64 v[71:72], v[57:58], s[22:23]
	v_add_f64 v[40:41], v[73:74], v[97:98]
	v_mul_f64 v[69:70], v[47:48], s[10:11]
	v_mul_f64 v[89:90], v[45:46], s[22:23]
	v_add_f64 v[63:64], v[63:64], v[79:80]
	v_mul_f64 v[55:56], v[53:54], s[16:17]
	v_mul_f64 v[79:80], v[42:43], s[10:11]
	v_fma_f64 v[77:78], v[49:50], s[22:23], v[51:52]
	v_mul_f64 v[49:50], v[49:50], s[18:19]
	v_mul_f64 v[51:52], v[59:60], s[20:21]
	v_fma_f64 v[99:100], v[42:43], s[16:17], -v[69:70]
	v_fma_f64 v[71:72], v[45:46], s[8:9], -v[71:72]
	;; [unrolled: 1-line block ×3, first 2 shown]
	v_fma_f64 v[93:94], v[59:60], s[10:11], v[55:56]
	v_fma_f64 v[79:80], v[47:48], s[20:21], -v[79:80]
	v_add_f64 v[42:43], v[75:76], v[63:64]
	v_fma_f64 v[101:102], v[61:62], s[22:23], v[49:50]
	v_fma_f64 v[103:104], v[53:54], s[10:11], v[51:52]
	v_add_f64 v[45:46], v[65:66], v[77:78]
	v_add_f64 v[53:54], v[85:86], v[99:100]
	;; [unrolled: 1-line block ×8, first 2 shown]
	v_add_f64 v[61:62], v[73:74], -v[97:98]
	v_add_f64 v[63:64], v[75:76], -v[63:64]
	;; [unrolled: 1-line block ×5, first 2 shown]
	v_mul_u32_u24_e32 v81, 0x6e, v115
	v_add_f64 v[69:70], v[83:84], -v[93:94]
	v_add_f64 v[71:72], v[91:92], -v[103:104]
	v_add_lshl_u32 v132, v81, v132, 4
	v_add_f64 v[73:74], v[85:86], -v[99:100]
	v_add_f64 v[75:76], v[95:96], -v[79:80]
	;; [unrolled: 1-line block ×3, first 2 shown]
	ds_write_b128 v132, v[40:43]
	ds_write_b128 v132, v[45:48] offset:176
	ds_write_b128 v132, v[49:52] offset:352
	;; [unrolled: 1-line block ×9, first 2 shown]
	s_waitcnt lgkmcnt(0)
	; wave barrier
	s_waitcnt lgkmcnt(0)
	global_load_dwordx4 v[60:63], v44, s[2:3] offset:1584
	global_load_dwordx4 v[56:59], v44, s[2:3] offset:1600
	;; [unrolled: 1-line block ×4, first 2 shown]
	v_add_u32_e32 v72, 0xdc0, v44
	global_load_dwordx4 v[68:71], v72, s[2:3] offset:1584
	global_load_dwordx4 v[64:67], v72, s[2:3] offset:1600
	;; [unrolled: 1-line block ×4, first 2 shown]
	ds_read_b128 v[72:75], v129 offset:1760
	ds_read_b128 v[76:79], v129
	ds_read_b128 v[92:95], v129 offset:880
	ds_read_b128 v[80:83], v129 offset:2640
	;; [unrolled: 1-line block ×8, first 2 shown]
	s_waitcnt vmcnt(7) lgkmcnt(9)
	v_mul_f64 v[112:113], v[74:75], v[62:63]
	v_mul_f64 v[114:115], v[72:73], v[62:63]
	s_waitcnt vmcnt(6) lgkmcnt(5)
	v_mul_f64 v[117:118], v[86:87], v[58:59]
	v_mul_f64 v[119:120], v[84:85], v[58:59]
	s_waitcnt vmcnt(5) lgkmcnt(3)
	v_mul_f64 v[121:122], v[98:99], v[50:51]
	v_fma_f64 v[112:113], v[72:73], v[60:61], -v[112:113]
	v_mul_f64 v[72:73], v[96:97], v[50:51]
	v_fma_f64 v[114:115], v[74:75], v[60:61], v[114:115]
	v_fma_f64 v[74:75], v[84:85], v[56:57], -v[117:118]
	s_waitcnt vmcnt(4) lgkmcnt(1)
	v_mul_f64 v[84:85], v[106:107], v[42:43]
	v_fma_f64 v[86:87], v[86:87], v[56:57], v[119:120]
	v_mul_f64 v[117:118], v[104:105], v[42:43]
	v_fma_f64 v[96:97], v[96:97], v[48:49], -v[121:122]
	s_waitcnt vmcnt(3)
	v_mul_f64 v[119:120], v[82:83], v[70:71]
	v_fma_f64 v[98:99], v[98:99], v[48:49], v[72:73]
	v_mul_f64 v[72:73], v[80:81], v[70:71]
	s_waitcnt vmcnt(2)
	v_mul_f64 v[121:122], v[90:91], v[66:67]
	v_fma_f64 v[84:85], v[104:105], v[40:41], -v[84:85]
	v_add_f64 v[104:105], v[76:77], v[112:113]
	v_fma_f64 v[106:107], v[106:107], v[40:41], v[117:118]
	v_add_f64 v[117:118], v[74:75], v[96:97]
	v_fma_f64 v[119:120], v[80:81], v[68:69], -v[119:120]
	v_mul_f64 v[80:81], v[88:89], v[66:67]
	v_fma_f64 v[123:124], v[82:83], v[68:69], v[72:73]
	v_fma_f64 v[121:122], v[88:89], v[64:65], -v[121:122]
	s_waitcnt vmcnt(1)
	v_mul_f64 v[72:73], v[102:103], v[54:55]
	v_add_f64 v[82:83], v[104:105], v[74:75]
	v_mul_f64 v[88:89], v[100:101], v[54:55]
	v_fma_f64 v[104:105], v[117:118], -0.5, v[76:77]
	v_add_f64 v[117:118], v[114:115], -v[106:107]
	v_fma_f64 v[125:126], v[90:91], v[64:65], v[80:81]
	s_waitcnt vmcnt(0) lgkmcnt(0)
	v_mul_f64 v[80:81], v[110:111], v[46:47]
	v_mul_f64 v[90:91], v[108:109], v[46:47]
	v_add_f64 v[127:128], v[112:113], v[84:85]
	v_add_f64 v[82:83], v[82:83], v[96:97]
	v_fma_f64 v[100:101], v[100:101], v[52:53], -v[72:73]
	v_fma_f64 v[102:103], v[102:103], v[52:53], v[88:89]
	v_fma_f64 v[88:89], v[117:118], s[16:17], v[104:105]
	v_add_f64 v[133:134], v[86:87], -v[98:99]
	v_fma_f64 v[108:109], v[108:109], v[44:45], -v[80:81]
	v_fma_f64 v[110:111], v[110:111], v[44:45], v[90:91]
	v_fma_f64 v[76:77], v[127:128], -0.5, v[76:77]
	v_add_f64 v[72:73], v[82:83], v[84:85]
	v_add_f64 v[80:81], v[112:113], -v[74:75]
	v_add_f64 v[82:83], v[84:85], -v[96:97]
	v_fma_f64 v[90:91], v[117:118], s[20:21], v[104:105]
	v_add_f64 v[104:105], v[78:79], v[114:115]
	v_fma_f64 v[88:89], v[133:134], s[8:9], v[88:89]
	v_add_f64 v[127:128], v[86:87], v[98:99]
	v_fma_f64 v[135:136], v[133:134], s[20:21], v[76:77]
	v_add_f64 v[137:138], v[74:75], -v[112:113]
	v_add_f64 v[139:140], v[96:97], -v[84:85]
	v_add_f64 v[80:81], v[80:81], v[82:83]
	v_fma_f64 v[82:83], v[133:134], s[18:19], v[90:91]
	v_fma_f64 v[90:91], v[133:134], s[16:17], v[76:77]
	v_add_f64 v[104:105], v[104:105], v[86:87]
	v_fma_f64 v[127:128], v[127:128], -0.5, v[78:79]
	v_add_f64 v[112:113], v[112:113], -v[84:85]
	v_fma_f64 v[84:85], v[117:118], s[8:9], v[135:136]
	v_add_f64 v[96:97], v[74:75], -v[96:97]
	v_fma_f64 v[76:77], v[80:81], s[10:11], v[88:89]
	v_fma_f64 v[80:81], v[80:81], s[10:11], v[82:83]
	;; [unrolled: 1-line block ×3, first 2 shown]
	v_add_f64 v[90:91], v[104:105], v[98:99]
	v_add_f64 v[104:105], v[114:115], v[106:107]
	;; [unrolled: 1-line block ×4, first 2 shown]
	v_fma_f64 v[117:118], v[112:113], s[20:21], v[127:128]
	v_add_f64 v[137:138], v[114:115], -v[86:87]
	v_add_f64 v[139:140], v[106:107], -v[98:99]
	v_fma_f64 v[127:128], v[112:113], s[16:17], v[127:128]
	v_add_f64 v[74:75], v[90:91], v[106:107]
	v_fma_f64 v[78:79], v[104:105], -0.5, v[78:79]
	v_add_f64 v[90:91], v[92:93], v[119:120]
	v_fma_f64 v[104:105], v[135:136], -0.5, v[92:93]
	v_add_f64 v[86:87], v[86:87], -v[114:115]
	v_add_f64 v[98:99], v[98:99], -v[106:107]
	v_fma_f64 v[84:85], v[133:134], s[10:11], v[84:85]
	v_fma_f64 v[88:89], v[133:134], s[10:11], v[82:83]
	;; [unrolled: 1-line block ×5, first 2 shown]
	v_add_f64 v[117:118], v[123:124], -v[110:111]
	v_add_f64 v[133:134], v[137:138], v[139:140]
	v_add_f64 v[90:91], v[90:91], v[121:122]
	v_fma_f64 v[96:97], v[96:97], s[8:9], v[127:128]
	v_add_f64 v[98:99], v[86:87], v[98:99]
	v_add_f64 v[114:115], v[125:126], -v[102:103]
	v_fma_f64 v[135:136], v[112:113], s[18:19], v[135:136]
	v_fma_f64 v[112:113], v[112:113], s[8:9], v[78:79]
	;; [unrolled: 1-line block ×3, first 2 shown]
	v_add_f64 v[137:138], v[119:120], -v[121:122]
	v_add_f64 v[139:140], v[108:109], -v[100:101]
	v_add_f64 v[127:128], v[119:120], v[108:109]
	v_add_f64 v[141:142], v[90:91], v[100:101]
	v_fma_f64 v[78:79], v[133:134], s[10:11], v[82:83]
	v_fma_f64 v[82:83], v[133:134], s[10:11], v[96:97]
	;; [unrolled: 1-line block ×4, first 2 shown]
	v_add_f64 v[98:99], v[125:126], v[102:103]
	v_add_f64 v[133:134], v[123:124], v[110:111]
	v_fma_f64 v[106:107], v[114:115], s[8:9], v[106:107]
	v_add_f64 v[137:138], v[137:138], v[139:140]
	v_fma_f64 v[127:128], v[127:128], -0.5, v[92:93]
	v_add_f64 v[92:93], v[141:142], v[108:109]
	v_fma_f64 v[104:105], v[117:118], s[20:21], v[104:105]
	v_add_f64 v[112:113], v[121:122], -v[119:120]
	v_add_f64 v[135:136], v[100:101], -v[108:109]
	v_add_f64 v[139:140], v[94:95], v[123:124]
	v_fma_f64 v[98:99], v[98:99], -0.5, v[94:95]
	v_add_f64 v[108:109], v[119:120], -v[108:109]
	v_add_f64 v[100:101], v[121:122], -v[100:101]
	v_fma_f64 v[94:95], v[133:134], -0.5, v[94:95]
	v_fma_f64 v[96:97], v[137:138], s[10:11], v[106:107]
	v_fma_f64 v[106:107], v[114:115], s[20:21], v[127:128]
	;; [unrolled: 1-line block ×3, first 2 shown]
	v_add_f64 v[112:113], v[112:113], v[135:136]
	v_fma_f64 v[114:115], v[114:115], s[16:17], v[127:128]
	v_add_f64 v[119:120], v[139:140], v[125:126]
	v_fma_f64 v[121:122], v[108:109], s[20:21], v[98:99]
	v_add_f64 v[127:128], v[123:124], -v[125:126]
	v_add_f64 v[133:134], v[110:111], -v[102:103]
	v_fma_f64 v[98:99], v[108:109], s[16:17], v[98:99]
	v_fma_f64 v[135:136], v[100:101], s[16:17], v[94:95]
	v_add_f64 v[123:124], v[125:126], -v[123:124]
	v_add_f64 v[125:126], v[102:103], -v[110:111]
	v_fma_f64 v[94:95], v[100:101], s[20:21], v[94:95]
	v_fma_f64 v[106:107], v[117:118], s[8:9], v[106:107]
	;; [unrolled: 1-line block ×3, first 2 shown]
	v_add_f64 v[102:103], v[119:120], v[102:103]
	v_fma_f64 v[117:118], v[100:101], s[18:19], v[121:122]
	v_add_f64 v[119:120], v[127:128], v[133:134]
	v_fma_f64 v[121:122], v[100:101], s[8:9], v[98:99]
	v_fma_f64 v[127:128], v[108:109], s[18:19], v[135:136]
	v_add_f64 v[123:124], v[123:124], v[125:126]
	v_fma_f64 v[125:126], v[108:109], s[8:9], v[94:95]
	v_fma_f64 v[108:109], v[137:138], s[10:11], v[104:105]
	;; [unrolled: 1-line block ×4, first 2 shown]
	v_add_f64 v[94:95], v[102:103], v[110:111]
	v_fma_f64 v[98:99], v[119:120], s[10:11], v[117:118]
	v_fma_f64 v[110:111], v[119:120], s[10:11], v[121:122]
	;; [unrolled: 1-line block ×4, first 2 shown]
	ds_write_b128 v129, v[72:75]
	ds_write_b128 v129, v[76:79] offset:1760
	ds_write_b128 v129, v[84:87] offset:3520
	;; [unrolled: 1-line block ×9, first 2 shown]
	s_waitcnt lgkmcnt(0)
	; wave barrier
	s_waitcnt lgkmcnt(0)
	s_and_saveexec_b64 s[8:9], s[0:1]
	s_cbranch_execz .LBB0_9
; %bb.8:
	v_mov_b32_e32 v112, s15
	v_add_co_u32_e32 v149, vcc, s14, v129
	v_addc_co_u32_e32 v154, vcc, 0, v112, vcc
	v_add_co_u32_e32 v157, vcc, 0x2260, v149
	v_addc_co_u32_e32 v158, vcc, 0, v154, vcc
	s_movk_i32 s2, 0x3000
	global_load_dwordx4 v[112:115], v[157:158], off offset:800
	global_load_dwordx4 v[117:120], v[157:158], off offset:1600
	;; [unrolled: 1-line block ×4, first 2 shown]
	v_add_co_u32_e64 v145, s[2:3], s2, v149
	v_addc_co_u32_e64 v146, s[2:3], 0, v154, s[2:3]
	s_movk_i32 s2, 0x4000
	v_add_co_u32_e32 v153, vcc, 0x2000, v149
	v_add_co_u32_e64 v149, s[2:3], s2, v149
	global_load_dwordx4 v[133:136], v[145:146], off offset:1312
	global_load_dwordx4 v[137:140], v[145:146], off offset:2112
	;; [unrolled: 1-line block ×3, first 2 shown]
	s_nop 0
	global_load_dwordx4 v[145:148], v[145:146], off offset:3712
	v_addc_co_u32_e64 v150, s[2:3], 0, v154, s[2:3]
	v_addc_co_u32_e32 v154, vcc, 0, v154, vcc
	global_load_dwordx4 v[149:152], v[149:150], off offset:416
	s_nop 0
	global_load_dwordx4 v[153:156], v[153:154], off offset:608
	s_nop 0
	global_load_dwordx4 v[157:160], v[157:158], off offset:4000
	ds_read_b128 v[161:164], v129
	ds_read_b128 v[165:168], v129 offset:800
	ds_read_b128 v[169:172], v129 offset:1600
	;; [unrolled: 1-line block ×10, first 2 shown]
	s_waitcnt vmcnt(10) lgkmcnt(9)
	v_mul_f64 v[205:206], v[167:168], v[114:115]
	v_mul_f64 v[114:115], v[165:166], v[114:115]
	s_waitcnt vmcnt(9) lgkmcnt(8)
	v_mul_f64 v[207:208], v[171:172], v[119:120]
	v_mul_f64 v[119:120], v[169:170], v[119:120]
	;; [unrolled: 3-line block ×4, first 2 shown]
	v_fma_f64 v[165:166], v[165:166], v[112:113], -v[205:206]
	v_fma_f64 v[167:168], v[167:168], v[112:113], v[114:115]
	s_waitcnt vmcnt(6) lgkmcnt(4)
	v_mul_f64 v[213:214], v[187:188], v[135:136]
	v_mul_f64 v[135:136], v[185:186], v[135:136]
	s_waitcnt vmcnt(5) lgkmcnt(3)
	v_mul_f64 v[215:216], v[191:192], v[139:140]
	v_mul_f64 v[139:140], v[189:190], v[139:140]
	;; [unrolled: 3-line block ×5, first 2 shown]
	s_waitcnt vmcnt(1)
	v_mul_f64 v[223:224], v[163:164], v[155:156]
	v_mul_f64 v[155:156], v[161:162], v[155:156]
	s_waitcnt vmcnt(0)
	v_mul_f64 v[225:226], v[183:184], v[159:160]
	v_mul_f64 v[159:160], v[181:182], v[159:160]
	v_fma_f64 v[112:113], v[169:170], v[117:118], -v[207:208]
	v_fma_f64 v[114:115], v[171:172], v[117:118], v[119:120]
	v_fma_f64 v[117:118], v[173:174], v[121:122], -v[209:210]
	v_fma_f64 v[119:120], v[175:176], v[121:122], v[123:124]
	;; [unrolled: 2-line block ×10, first 2 shown]
	ds_write_b128 v129, v[165:168] offset:800
	ds_write_b128 v129, v[112:115] offset:1600
	;; [unrolled: 1-line block ×8, first 2 shown]
	ds_write_b128 v129, v[149:152]
	ds_write_b128 v129, v[153:156] offset:4000
	ds_write_b128 v129, v[145:148] offset:8000
.LBB0_9:
	s_or_b64 exec, exec, s[8:9]
	s_waitcnt lgkmcnt(0)
	; wave barrier
	s_waitcnt lgkmcnt(0)
	s_and_saveexec_b64 s[2:3], s[0:1]
	s_cbranch_execz .LBB0_11
; %bb.10:
	ds_read_b128 v[72:75], v129
	ds_read_b128 v[76:79], v129 offset:800
	ds_read_b128 v[84:87], v129 offset:1600
	;; [unrolled: 1-line block ×10, first 2 shown]
.LBB0_11:
	s_or_b64 exec, exec, s[2:3]
	s_waitcnt lgkmcnt(0)
	; wave barrier
	s_waitcnt lgkmcnt(0)
	s_and_saveexec_b64 s[2:3], s[0:1]
	s_cbranch_execz .LBB0_13
; %bb.12:
	v_add_f64 v[153:154], v[76:77], -v[0:1]
	v_add_f64 v[157:158], v[78:79], -v[2:3]
	s_mov_b32 s24, 0xfd768dbf
	s_mov_b32 s25, 0xbfd207e7
	v_add_f64 v[155:156], v[84:85], -v[108:109]
	v_add_f64 v[159:160], v[78:79], v[2:3]
	v_add_f64 v[161:162], v[86:87], -v[110:111]
	v_add_f64 v[163:164], v[76:77], v[0:1]
	v_mul_f64 v[135:136], v[153:154], s[24:25]
	v_mul_f64 v[139:140], v[157:158], s[24:25]
	s_mov_b32 s30, 0xf8bb580b
	s_mov_b32 s22, 0x9bcd5057
	;; [unrolled: 1-line block ×4, first 2 shown]
	v_add_f64 v[127:128], v[88:89], -v[104:105]
	v_mul_f64 v[137:138], v[155:156], s[30:31]
	v_add_f64 v[165:166], v[86:87], v[110:111]
	v_fma_f64 v[141:142], v[159:160], s[22:23], v[135:136]
	v_add_f64 v[167:168], v[90:91], -v[106:107]
	v_add_f64 v[169:170], v[84:85], v[108:109]
	v_mul_f64 v[143:144], v[161:162], s[30:31]
	v_fma_f64 v[145:146], v[163:164], s[22:23], -v[139:140]
	s_mov_b32 s20, 0xbb3a28a1
	s_mov_b32 s26, 0x8764f0ba
	;; [unrolled: 1-line block ×4, first 2 shown]
	v_add_f64 v[125:126], v[80:81], -v[100:101]
	v_mul_f64 v[114:115], v[127:128], s[20:21]
	v_add_f64 v[123:124], v[90:91], v[106:107]
	v_fma_f64 v[147:148], v[165:166], s[26:27], v[137:138]
	v_add_f64 v[141:142], v[74:75], v[141:142]
	v_add_f64 v[171:172], v[82:83], -v[102:103]
	v_add_f64 v[173:174], v[88:89], v[104:105]
	v_mul_f64 v[149:150], v[167:168], s[20:21]
	v_fma_f64 v[151:152], v[169:170], s[26:27], -v[143:144]
	v_add_f64 v[145:146], v[72:73], v[145:146]
	s_mov_b32 s18, 0x7f775887
	s_mov_b32 s11, 0x3fed1bb4
	;; [unrolled: 1-line block ×4, first 2 shown]
	v_add_f64 v[119:120], v[92:93], -v[96:97]
	v_mul_f64 v[112:113], v[125:126], s[10:11]
	v_add_f64 v[121:122], v[82:83], v[102:103]
	v_fma_f64 v[175:176], v[123:124], s[18:19], v[114:115]
	v_fma_f64 v[135:136], v[159:160], s[22:23], -v[135:136]
	v_add_f64 v[141:142], v[147:148], v[141:142]
	v_add_f64 v[177:178], v[94:95], -v[98:99]
	v_add_f64 v[179:180], v[80:81], v[100:101]
	v_mul_f64 v[147:148], v[171:172], s[10:11]
	v_fma_f64 v[181:182], v[173:174], s[18:19], -v[149:150]
	v_add_f64 v[145:146], v[151:152], v[145:146]
	s_mov_b32 s8, 0x43842ef
	s_mov_b32 s16, 0xd9c712b6
	;; [unrolled: 1-line block ×4, first 2 shown]
	v_add_f64 v[117:118], v[94:95], v[98:99]
	v_mul_f64 v[133:134], v[119:120], s[8:9]
	v_fma_f64 v[137:138], v[165:166], s[26:27], -v[137:138]
	v_add_f64 v[135:136], v[74:75], v[135:136]
	v_fma_f64 v[151:152], v[121:122], s[16:17], v[112:113]
	v_add_f64 v[141:142], v[175:176], v[141:142]
	v_add_f64 v[175:176], v[92:93], v[96:97]
	v_mul_f64 v[183:184], v[177:178], s[8:9]
	v_fma_f64 v[185:186], v[179:180], s[16:17], -v[147:148]
	v_add_f64 v[145:146], v[181:182], v[145:146]
	s_mov_b32 s28, 0x640f44db
	s_mov_b32 s29, 0xbfc2375f
	v_fma_f64 v[114:115], v[123:124], s[18:19], -v[114:115]
	v_add_f64 v[135:136], v[137:138], v[135:136]
	v_fma_f64 v[137:138], v[117:118], s[28:29], v[133:134]
	v_add_f64 v[141:142], v[151:152], v[141:142]
	v_fma_f64 v[151:152], v[175:176], s[28:29], -v[183:184]
	v_add_f64 v[145:146], v[185:186], v[145:146]
	v_fma_f64 v[181:182], v[121:122], s[16:17], -v[112:113]
	v_fma_f64 v[139:140], v[163:164], s[22:23], v[139:140]
	s_mov_b32 s37, 0x3fefac9e
	v_add_f64 v[135:136], v[114:115], v[135:136]
	s_mov_b32 s36, s8
	v_add_f64 v[114:115], v[137:138], v[141:142]
	v_mul_f64 v[141:142], v[153:154], s[20:21]
	v_add_f64 v[112:113], v[151:152], v[145:146]
	v_fma_f64 v[145:146], v[173:174], s[18:19], v[149:150]
	v_mul_f64 v[149:150], v[157:158], s[20:21]
	v_fma_f64 v[137:138], v[175:176], s[28:29], v[183:184]
	v_add_f64 v[135:136], v[181:182], v[135:136]
	v_fma_f64 v[143:144], v[169:170], s[26:27], v[143:144]
	v_mul_f64 v[151:152], v[155:156], s[36:37]
	v_fma_f64 v[181:182], v[159:160], s[18:19], v[141:142]
	v_add_f64 v[139:140], v[72:73], v[139:140]
	v_mul_f64 v[183:184], v[161:162], s[36:37]
	v_fma_f64 v[185:186], v[163:164], s[18:19], -v[149:150]
	s_mov_b32 s35, 0xbfe14ced
	s_mov_b32 s34, s30
	v_mul_f64 v[187:188], v[127:128], s[34:35]
	v_fma_f64 v[189:190], v[165:166], s[28:29], v[151:152]
	v_add_f64 v[181:182], v[74:75], v[181:182]
	v_add_f64 v[139:140], v[143:144], v[139:140]
	v_fma_f64 v[143:144], v[179:180], s[16:17], v[147:148]
	v_mul_f64 v[147:148], v[167:168], s[34:35]
	v_fma_f64 v[191:192], v[169:170], s[28:29], -v[183:184]
	v_add_f64 v[185:186], v[72:73], v[185:186]
	v_mul_f64 v[193:194], v[125:126], s[24:25]
	v_fma_f64 v[195:196], v[123:124], s[26:27], v[187:188]
	v_add_f64 v[181:182], v[189:190], v[181:182]
	v_add_f64 v[139:140], v[145:146], v[139:140]
	v_fma_f64 v[141:142], v[159:160], s[18:19], -v[141:142]
	v_mul_f64 v[145:146], v[171:172], s[24:25]
	v_fma_f64 v[189:190], v[173:174], s[26:27], -v[147:148]
	v_add_f64 v[185:186], v[191:192], v[185:186]
	v_mul_f64 v[191:192], v[119:120], s[10:11]
	v_fma_f64 v[197:198], v[121:122], s[22:23], v[193:194]
	v_add_f64 v[181:182], v[195:196], v[181:182]
	v_fma_f64 v[151:152], v[165:166], s[28:29], -v[151:152]
	v_add_f64 v[141:142], v[74:75], v[141:142]
	v_mul_f64 v[195:196], v[177:178], s[10:11]
	v_fma_f64 v[199:200], v[179:180], s[22:23], -v[145:146]
	v_add_f64 v[185:186], v[189:190], v[185:186]
	v_fma_f64 v[149:150], v[163:164], s[18:19], v[149:150]
	v_fma_f64 v[133:134], v[117:118], s[28:29], -v[133:134]
	v_add_f64 v[139:140], v[143:144], v[139:140]
	v_fma_f64 v[143:144], v[117:118], s[16:17], v[191:192]
	v_add_f64 v[141:142], v[151:152], v[141:142]
	v_add_f64 v[151:152], v[197:198], v[181:182]
	v_fma_f64 v[181:182], v[175:176], s[16:17], -v[195:196]
	v_add_f64 v[185:186], v[199:200], v[185:186]
	v_fma_f64 v[183:184], v[169:170], s[28:29], v[183:184]
	v_add_f64 v[149:150], v[72:73], v[149:150]
	v_fma_f64 v[187:188], v[123:124], s[26:27], -v[187:188]
	v_add_f64 v[135:136], v[133:134], v[135:136]
	v_add_f64 v[133:134], v[137:138], v[139:140]
	;; [unrolled: 1-line block ×3, first 2 shown]
	v_fma_f64 v[147:148], v[173:174], s[26:27], v[147:148]
	v_add_f64 v[137:138], v[181:182], v[185:186]
	v_mul_f64 v[151:152], v[153:154], s[8:9]
	v_add_f64 v[149:150], v[183:184], v[149:150]
	v_mul_f64 v[181:182], v[157:158], s[8:9]
	s_mov_b32 s39, 0x3fd207e7
	s_mov_b32 s38, s24
	v_fma_f64 v[189:190], v[121:122], s[22:23], -v[193:194]
	v_add_f64 v[141:142], v[187:188], v[141:142]
	v_fma_f64 v[145:146], v[179:180], s[22:23], v[145:146]
	v_mul_f64 v[183:184], v[155:156], s[38:39]
	v_fma_f64 v[185:186], v[159:160], s[28:29], v[151:152]
	v_add_f64 v[147:148], v[147:148], v[149:150]
	v_mul_f64 v[149:150], v[161:162], s[38:39]
	v_fma_f64 v[187:188], v[163:164], s[28:29], -v[181:182]
	v_fma_f64 v[143:144], v[117:118], s[16:17], -v[191:192]
	v_add_f64 v[141:142], v[189:190], v[141:142]
	v_mul_f64 v[189:190], v[127:128], s[10:11]
	v_fma_f64 v[191:192], v[165:166], s[22:23], v[183:184]
	v_add_f64 v[185:186], v[74:75], v[185:186]
	v_add_f64 v[145:146], v[145:146], v[147:148]
	v_mul_f64 v[193:194], v[167:168], s[10:11]
	v_fma_f64 v[147:148], v[159:160], s[28:29], -v[151:152]
	v_fma_f64 v[151:152], v[169:170], s[22:23], -v[149:150]
	v_add_f64 v[187:188], v[72:73], v[187:188]
	v_add_f64 v[143:144], v[143:144], v[141:142]
	v_fma_f64 v[141:142], v[175:176], s[16:17], v[195:196]
	v_mul_f64 v[195:196], v[125:126], s[34:35]
	v_fma_f64 v[197:198], v[123:124], s[16:17], v[189:190]
	v_add_f64 v[185:186], v[191:192], v[185:186]
	v_mul_f64 v[191:192], v[171:172], s[34:35]
	v_fma_f64 v[183:184], v[165:166], s[22:23], -v[183:184]
	v_add_f64 v[147:148], v[74:75], v[147:148]
	v_fma_f64 v[199:200], v[173:174], s[16:17], -v[193:194]
	v_add_f64 v[151:152], v[151:152], v[187:188]
	v_mul_f64 v[187:188], v[119:120], s[20:21]
	v_fma_f64 v[201:202], v[121:122], s[26:27], v[195:196]
	v_add_f64 v[185:186], v[197:198], v[185:186]
	v_mul_f64 v[197:198], v[177:178], s[20:21]
	v_fma_f64 v[189:190], v[123:124], s[16:17], -v[189:190]
	v_add_f64 v[147:148], v[183:184], v[147:148]
	v_fma_f64 v[183:184], v[179:180], s[26:27], -v[191:192]
	v_add_f64 v[151:152], v[199:200], v[151:152]
	v_fma_f64 v[181:182], v[163:164], s[28:29], v[181:182]
	v_add_f64 v[141:142], v[141:142], v[145:146]
	v_fma_f64 v[145:146], v[117:118], s[18:19], v[187:188]
	v_add_f64 v[185:186], v[201:202], v[185:186]
	v_fma_f64 v[195:196], v[121:122], s[26:27], -v[195:196]
	v_add_f64 v[147:148], v[189:190], v[147:148]
	v_fma_f64 v[189:190], v[175:176], s[18:19], -v[197:198]
	v_add_f64 v[151:152], v[183:184], v[151:152]
	v_fma_f64 v[149:150], v[169:170], s[22:23], v[149:150]
	v_add_f64 v[181:182], v[72:73], v[181:182]
	s_mov_b32 s11, 0xbfed1bb4
	v_fma_f64 v[183:184], v[117:118], s[18:19], -v[187:188]
	v_mul_f64 v[187:188], v[153:154], s[10:11]
	v_add_f64 v[195:196], v[195:196], v[147:148]
	v_add_f64 v[147:148], v[145:146], v[185:186]
	;; [unrolled: 1-line block ×3, first 2 shown]
	v_fma_f64 v[189:190], v[173:174], s[16:17], v[193:194]
	v_add_f64 v[149:150], v[149:150], v[181:182]
	v_mul_f64 v[185:186], v[157:158], s[10:11]
	v_fma_f64 v[181:182], v[179:180], s[26:27], v[191:192]
	v_add_f64 v[78:79], v[74:75], v[78:79]
	v_add_f64 v[76:77], v[72:73], v[76:77]
	v_mul_f64 v[193:194], v[155:156], s[20:21]
	v_add_f64 v[151:152], v[183:184], v[195:196]
	v_mul_f64 v[183:184], v[161:162], s[20:21]
	v_add_f64 v[149:150], v[189:190], v[149:150]
	v_fma_f64 v[191:192], v[163:164], s[16:17], -v[185:186]
	v_mul_f64 v[195:196], v[127:128], s[38:39]
	v_add_f64 v[78:79], v[78:79], v[86:87]
	v_add_f64 v[84:85], v[76:77], v[84:85]
	v_fma_f64 v[201:202], v[165:166], s[18:19], v[193:194]
	v_fma_f64 v[193:194], v[165:166], s[18:19], -v[193:194]
	v_fma_f64 v[203:204], v[169:170], s[18:19], -v[183:184]
	v_add_f64 v[149:150], v[181:182], v[149:150]
	v_fma_f64 v[181:182], v[159:160], s[16:17], -v[187:188]
	v_add_f64 v[191:192], v[72:73], v[191:192]
	v_add_f64 v[78:79], v[78:79], v[90:91]
	;; [unrolled: 1-line block ×3, first 2 shown]
	v_fma_f64 v[189:190], v[175:176], s[18:19], v[197:198]
	v_fma_f64 v[207:208], v[123:124], s[22:23], v[195:196]
	v_fma_f64 v[195:196], v[123:124], s[22:23], -v[195:196]
	v_fma_f64 v[185:186], v[163:164], s[16:17], v[185:186]
	v_add_f64 v[181:182], v[74:75], v[181:182]
	v_add_f64 v[191:192], v[203:204], v[191:192]
	v_mul_f64 v[203:204], v[119:120], s[30:31]
	v_mul_f64 v[153:154], v[153:154], s[34:35]
	v_fma_f64 v[199:200], v[159:160], s[16:17], v[187:188]
	v_add_f64 v[78:79], v[78:79], v[82:83]
	v_add_f64 v[80:81], v[84:85], v[80:81]
	;; [unrolled: 1-line block ×4, first 2 shown]
	v_fma_f64 v[183:184], v[169:170], s[18:19], v[183:184]
	v_fma_f64 v[189:190], v[117:118], s[26:27], v[203:204]
	v_add_f64 v[185:186], v[72:73], v[185:186]
	v_mul_f64 v[155:156], v[155:156], s[10:11]
	v_mul_f64 v[82:83], v[157:158], s[34:35]
	v_add_f64 v[199:200], v[74:75], v[199:200]
	v_mul_f64 v[197:198], v[167:168], s[38:39]
	v_add_f64 v[181:182], v[195:196], v[181:182]
	v_fma_f64 v[195:196], v[117:118], s[26:27], -v[203:204]
	v_fma_f64 v[203:204], v[159:160], s[26:27], v[153:154]
	v_add_f64 v[78:79], v[78:79], v[94:95]
	v_add_f64 v[80:81], v[80:81], v[92:93]
	;; [unrolled: 1-line block ×3, first 2 shown]
	v_mul_f64 v[127:128], v[127:128], s[8:9]
	v_fma_f64 v[86:87], v[165:166], s[16:17], v[155:156]
	v_fma_f64 v[153:154], v[159:160], s[26:27], -v[153:154]
	v_mul_f64 v[157:158], v[161:162], s[10:11]
	v_add_f64 v[185:186], v[74:75], v[203:204]
	v_fma_f64 v[92:93], v[163:164], s[26:27], v[82:83]
	v_fma_f64 v[82:83], v[163:164], s[26:27], -v[82:83]
	v_mul_f64 v[205:206], v[125:126], s[36:37]
	v_add_f64 v[199:200], v[201:202], v[199:200]
	v_fma_f64 v[201:202], v[173:174], s[22:23], -v[197:198]
	v_add_f64 v[78:79], v[78:79], v[98:99]
	v_add_f64 v[80:81], v[80:81], v[96:97]
	v_fma_f64 v[88:89], v[123:124], s[28:29], v[127:128]
	v_add_f64 v[86:87], v[86:87], v[185:186]
	v_mul_f64 v[94:95], v[167:168], s[8:9]
	v_fma_f64 v[155:156], v[165:166], s[16:17], -v[155:156]
	v_add_f64 v[74:75], v[74:75], v[153:154]
	v_fma_f64 v[153:154], v[169:170], s[16:17], v[157:158]
	v_add_f64 v[92:93], v[72:73], v[92:93]
	v_fma_f64 v[96:97], v[169:170], s[16:17], -v[157:158]
	v_add_f64 v[72:73], v[72:73], v[82:83]
	v_mul_f64 v[187:188], v[171:172], s[36:37]
	v_add_f64 v[191:192], v[201:202], v[191:192]
	v_fma_f64 v[201:202], v[121:122], s[28:29], -v[205:206]
	v_fma_f64 v[197:198], v[173:174], s[22:23], v[197:198]
	v_add_f64 v[78:79], v[78:79], v[102:103]
	v_add_f64 v[80:81], v[80:81], v[100:101]
	v_mul_f64 v[125:126], v[125:126], s[20:21]
	v_add_f64 v[84:85], v[88:89], v[86:87]
	v_mul_f64 v[88:89], v[171:172], s[20:21]
	v_fma_f64 v[82:83], v[123:124], s[28:29], -v[127:128]
	v_add_f64 v[74:75], v[155:156], v[74:75]
	v_fma_f64 v[98:99], v[173:174], s[28:29], v[94:95]
	v_add_f64 v[92:93], v[153:154], v[92:93]
	v_fma_f64 v[94:95], v[173:174], s[28:29], -v[94:95]
	v_add_f64 v[72:73], v[96:97], v[72:73]
	v_fma_f64 v[211:212], v[179:180], s[28:29], -v[187:188]
	v_add_f64 v[181:182], v[201:202], v[181:182]
	v_fma_f64 v[187:188], v[179:180], s[28:29], v[187:188]
	v_add_f64 v[183:184], v[197:198], v[183:184]
	v_add_f64 v[78:79], v[78:79], v[106:107]
	v_add_f64 v[80:81], v[80:81], v[104:105]
	v_mul_f64 v[119:120], v[119:120], s[24:25]
	v_mul_f64 v[86:87], v[177:178], s[24:25]
	v_fma_f64 v[96:97], v[121:122], s[18:19], -v[125:126]
	v_add_f64 v[74:75], v[82:83], v[74:75]
	v_fma_f64 v[82:83], v[179:180], s[18:19], v[88:89]
	v_add_f64 v[92:93], v[98:99], v[92:93]
	v_add_f64 v[199:200], v[207:208], v[199:200]
	v_mul_f64 v[207:208], v[177:178], s[30:31]
	v_fma_f64 v[88:89], v[179:180], s[18:19], -v[88:89]
	v_add_f64 v[72:73], v[94:95], v[72:73]
	v_fma_f64 v[209:210], v[121:122], s[28:29], v[205:206]
	v_add_f64 v[76:77], v[195:196], v[181:182]
	v_add_f64 v[181:182], v[187:188], v[183:184]
	v_fma_f64 v[183:184], v[121:122], s[18:19], v[125:126]
	v_add_f64 v[78:79], v[78:79], v[110:111]
	v_add_f64 v[98:99], v[80:81], v[108:109]
	v_fma_f64 v[94:95], v[117:118], s[22:23], -v[119:120]
	v_add_f64 v[74:75], v[96:97], v[74:75]
	v_fma_f64 v[96:97], v[175:176], s[22:23], v[86:87]
	v_add_f64 v[82:83], v[82:83], v[92:93]
	v_fma_f64 v[90:91], v[175:176], s[26:27], v[207:208]
	v_fma_f64 v[86:87], v[175:176], s[22:23], -v[86:87]
	v_add_f64 v[72:73], v[88:89], v[72:73]
	v_add_f64 v[193:194], v[209:210], v[199:200]
	v_fma_f64 v[199:200], v[175:176], s[26:27], -v[207:208]
	v_add_f64 v[191:192], v[211:212], v[191:192]
	v_fma_f64 v[92:93], v[117:118], s[22:23], v[119:120]
	v_add_f64 v[100:101], v[183:184], v[84:85]
	v_add_f64 v[2:3], v[78:79], v[2:3]
	;; [unrolled: 1-line block ×7, first 2 shown]
	v_lshlrev_b32_e32 v72, 4, v131
	v_add_f64 v[84:85], v[189:190], v[193:194]
	v_add_f64 v[82:83], v[199:200], v[191:192]
	;; [unrolled: 1-line block ×3, first 2 shown]
	ds_write_b128 v72, v[0:3]
	ds_write_b128 v72, v[78:81] offset:16
	ds_write_b128 v72, v[74:77] offset:32
	;; [unrolled: 1-line block ×10, first 2 shown]
.LBB0_13:
	s_or_b64 exec, exec, s[2:3]
	s_waitcnt lgkmcnt(0)
	; wave barrier
	s_waitcnt lgkmcnt(0)
	ds_read_b128 v[0:3], v129
	ds_read_b128 v[72:75], v129 offset:880
	ds_read_b128 v[76:79], v129 offset:1760
	;; [unrolled: 1-line block ×5, first 2 shown]
	s_waitcnt lgkmcnt(4)
	v_mul_f64 v[108:109], v[22:23], v[74:75]
	v_mul_f64 v[22:23], v[22:23], v[72:73]
	s_waitcnt lgkmcnt(3)
	v_mul_f64 v[110:111], v[14:15], v[78:79]
	v_mul_f64 v[14:15], v[14:15], v[76:77]
	ds_read_b128 v[92:95], v129 offset:5280
	ds_read_b128 v[96:99], v129 offset:6160
	ds_read_b128 v[100:103], v129 offset:7040
	ds_read_b128 v[104:107], v129 offset:7920
	s_mov_b32 s2, 0x134454ff
	s_mov_b32 s3, 0xbfee6f0e
	v_fma_f64 v[72:73], v[20:21], v[72:73], v[108:109]
	v_fma_f64 v[20:21], v[20:21], v[74:75], -v[22:23]
	s_waitcnt lgkmcnt(6)
	v_mul_f64 v[22:23], v[10:11], v[82:83]
	v_mul_f64 v[10:11], v[10:11], v[80:81]
	v_fma_f64 v[74:75], v[12:13], v[76:77], v[110:111]
	s_waitcnt lgkmcnt(5)
	v_mul_f64 v[76:77], v[6:7], v[86:87]
	v_fma_f64 v[12:13], v[12:13], v[78:79], -v[14:15]
	v_mul_f64 v[6:7], v[6:7], v[84:85]
	s_waitcnt lgkmcnt(4)
	v_mul_f64 v[14:15], v[34:35], v[90:91]
	s_waitcnt lgkmcnt(3)
	v_mul_f64 v[78:79], v[26:27], v[94:95]
	v_fma_f64 v[22:23], v[8:9], v[80:81], v[22:23]
	v_fma_f64 v[8:9], v[8:9], v[82:83], -v[10:11]
	v_mul_f64 v[10:11], v[34:35], v[88:89]
	v_fma_f64 v[34:35], v[4:5], v[84:85], v[76:77]
	v_add_f64 v[76:77], v[0:1], v[74:75]
	v_fma_f64 v[4:5], v[4:5], v[86:87], -v[6:7]
	v_fma_f64 v[6:7], v[32:33], v[88:89], v[14:15]
	v_fma_f64 v[14:15], v[24:25], v[92:93], v[78:79]
	s_waitcnt lgkmcnt(1)
	v_mul_f64 v[78:79], v[30:31], v[100:101]
	v_mul_f64 v[30:31], v[30:31], v[102:103]
	v_fma_f64 v[10:11], v[32:33], v[90:91], -v[10:11]
	v_mul_f64 v[26:27], v[26:27], v[92:93]
	v_add_f64 v[32:33], v[76:77], v[34:35]
	v_mul_f64 v[76:77], v[18:19], v[98:99]
	v_mul_f64 v[18:19], v[18:19], v[96:97]
	v_add_f64 v[80:81], v[34:35], v[14:15]
	v_fma_f64 v[78:79], v[28:29], v[102:103], -v[78:79]
	v_fma_f64 v[28:29], v[28:29], v[100:101], v[30:31]
	s_waitcnt lgkmcnt(0)
	v_mul_f64 v[30:31], v[38:39], v[106:107]
	v_mul_f64 v[38:39], v[38:39], v[104:105]
	v_fma_f64 v[24:25], v[24:25], v[94:95], -v[26:27]
	v_fma_f64 v[26:27], v[16:17], v[96:97], v[76:77]
	v_fma_f64 v[16:17], v[16:17], v[98:99], -v[18:19]
	v_fma_f64 v[76:77], v[80:81], -0.5, v[0:1]
	v_add_f64 v[80:81], v[12:13], -v[78:79]
	s_mov_b32 s11, 0x3fee6f0e
	v_fma_f64 v[18:19], v[36:37], v[104:105], v[30:31]
	v_fma_f64 v[30:31], v[36:37], v[106:107], -v[38:39]
	v_add_f64 v[36:37], v[74:75], v[28:29]
	s_mov_b32 s10, s2
	v_add_f64 v[82:83], v[4:5], -v[24:25]
	v_add_f64 v[84:85], v[74:75], -v[34:35]
	v_fma_f64 v[38:39], v[80:81], s[2:3], v[76:77]
	v_add_f64 v[86:87], v[28:29], -v[14:15]
	v_fma_f64 v[76:77], v[80:81], s[10:11], v[76:77]
	s_mov_b32 s8, 0x4755a5e
	v_fma_f64 v[0:1], v[36:37], -0.5, v[0:1]
	s_mov_b32 s9, 0xbfe2cf23
	s_mov_b32 s19, 0x3fe2cf23
	;; [unrolled: 1-line block ×3, first 2 shown]
	v_add_f64 v[32:33], v[32:33], v[14:15]
	v_fma_f64 v[36:37], v[82:83], s[8:9], v[38:39]
	v_add_f64 v[38:39], v[84:85], v[86:87]
	v_add_f64 v[84:85], v[4:5], v[24:25]
	v_fma_f64 v[76:77], v[82:83], s[18:19], v[76:77]
	v_fma_f64 v[86:87], v[82:83], s[10:11], v[0:1]
	v_add_f64 v[88:89], v[34:35], -v[74:75]
	v_add_f64 v[90:91], v[14:15], -v[28:29]
	v_add_f64 v[92:93], v[2:3], v[12:13]
	v_fma_f64 v[0:1], v[82:83], s[2:3], v[0:1]
	s_mov_b32 s16, 0x372fe950
	s_mov_b32 s17, 0x3fd3c6ef
	v_add_f64 v[32:33], v[32:33], v[28:29]
	v_fma_f64 v[84:85], v[84:85], -0.5, v[2:3]
	v_add_f64 v[28:29], v[74:75], -v[28:29]
	v_fma_f64 v[36:37], v[38:39], s[16:17], v[36:37]
	v_fma_f64 v[38:39], v[38:39], s[16:17], v[76:77]
	;; [unrolled: 1-line block ×3, first 2 shown]
	v_add_f64 v[76:77], v[88:89], v[90:91]
	v_add_f64 v[82:83], v[92:93], v[4:5]
	v_fma_f64 v[0:1], v[80:81], s[18:19], v[0:1]
	v_add_f64 v[14:15], v[34:35], -v[14:15]
	v_fma_f64 v[86:87], v[28:29], s[10:11], v[84:85]
	v_add_f64 v[34:35], v[12:13], -v[4:5]
	v_add_f64 v[88:89], v[78:79], -v[24:25]
	v_fma_f64 v[84:85], v[28:29], s[2:3], v[84:85]
	v_add_f64 v[90:91], v[12:13], v[78:79]
	v_add_f64 v[80:81], v[82:83], v[24:25]
	v_fma_f64 v[74:75], v[76:77], s[16:17], v[74:75]
	v_add_f64 v[82:83], v[6:7], v[26:27]
	v_fma_f64 v[76:77], v[76:77], s[16:17], v[0:1]
	v_add_f64 v[0:1], v[72:73], v[22:23]
	v_fma_f64 v[86:87], v[14:15], s[18:19], v[86:87]
	v_add_f64 v[34:35], v[34:35], v[88:89]
	v_fma_f64 v[84:85], v[14:15], s[8:9], v[84:85]
	v_fma_f64 v[2:3], v[90:91], -0.5, v[2:3]
	v_add_f64 v[88:89], v[8:9], -v[30:31]
	v_fma_f64 v[82:83], v[82:83], -0.5, v[72:73]
	v_add_f64 v[80:81], v[80:81], v[78:79]
	v_add_f64 v[0:1], v[0:1], v[6:7]
	v_add_f64 v[4:5], v[4:5], -v[12:13]
	v_fma_f64 v[86:87], v[34:35], s[16:17], v[86:87]
	v_fma_f64 v[84:85], v[34:35], s[16:17], v[84:85]
	;; [unrolled: 1-line block ×3, first 2 shown]
	v_add_f64 v[12:13], v[24:25], -v[78:79]
	v_fma_f64 v[2:3], v[14:15], s[10:11], v[2:3]
	v_fma_f64 v[14:15], v[88:89], s[2:3], v[82:83]
	v_add_f64 v[24:25], v[10:11], -v[16:17]
	v_add_f64 v[78:79], v[22:23], -v[6:7]
	v_add_f64 v[90:91], v[18:19], -v[26:27]
	v_add_f64 v[92:93], v[22:23], v[18:19]
	v_add_f64 v[94:95], v[10:11], v[16:17]
	;; [unrolled: 1-line block ×3, first 2 shown]
	v_fma_f64 v[34:35], v[28:29], s[18:19], v[34:35]
	v_add_f64 v[4:5], v[4:5], v[12:13]
	v_fma_f64 v[2:3], v[28:29], s[8:9], v[2:3]
	v_fma_f64 v[12:13], v[24:25], s[8:9], v[14:15]
	v_add_f64 v[14:15], v[78:79], v[90:91]
	v_fma_f64 v[28:29], v[92:93], -0.5, v[72:73]
	v_fma_f64 v[72:73], v[88:89], s[10:11], v[82:83]
	v_fma_f64 v[78:79], v[94:95], -0.5, v[20:21]
	v_add_f64 v[82:83], v[22:23], -v[18:19]
	v_add_f64 v[92:93], v[0:1], v[18:19]
	v_add_f64 v[0:1], v[8:9], v[30:31]
	v_fma_f64 v[34:35], v[4:5], s[16:17], v[34:35]
	v_fma_f64 v[90:91], v[4:5], s[16:17], v[2:3]
	v_add_f64 v[94:95], v[6:7], -v[26:27]
	v_fma_f64 v[4:5], v[24:25], s[18:19], v[72:73]
	v_add_f64 v[96:97], v[8:9], -v[10:11]
	;; [unrolled: 2-line block ×3, first 2 shown]
	v_fma_f64 v[0:1], v[0:1], -0.5, v[20:21]
	v_add_f64 v[20:21], v[20:21], v[8:9]
	v_fma_f64 v[2:3], v[24:25], s[10:11], v[28:29]
	v_add_f64 v[6:7], v[6:7], -v[22:23]
	v_add_f64 v[18:19], v[26:27], -v[18:19]
	v_fma_f64 v[22:23], v[24:25], s[2:3], v[28:29]
	v_fma_f64 v[24:25], v[94:95], s[18:19], v[72:73]
	v_add_f64 v[26:27], v[96:97], v[98:99]
	v_fma_f64 v[28:29], v[94:95], s[2:3], v[0:1]
	v_add_f64 v[8:9], v[10:11], -v[8:9]
	v_add_f64 v[72:73], v[16:17], -v[30:31]
	v_fma_f64 v[0:1], v[94:95], s[10:11], v[0:1]
	v_add_f64 v[10:11], v[20:21], v[10:11]
	v_fma_f64 v[20:21], v[82:83], s[2:3], v[78:79]
	v_fma_f64 v[2:3], v[88:89], s[8:9], v[2:3]
	v_add_f64 v[6:7], v[6:7], v[18:19]
	v_fma_f64 v[18:19], v[88:89], s[18:19], v[22:23]
	v_fma_f64 v[22:23], v[26:27], s[16:17], v[24:25]
	v_fma_f64 v[24:25], v[82:83], s[18:19], v[28:29]
	v_add_f64 v[8:9], v[8:9], v[72:73]
	v_fma_f64 v[0:1], v[82:83], s[8:9], v[0:1]
	v_add_f64 v[10:11], v[10:11], v[16:17]
	v_fma_f64 v[16:17], v[94:95], s[8:9], v[20:21]
	v_fma_f64 v[12:13], v[14:15], s[16:17], v[12:13]
	;; [unrolled: 1-line block ×5, first 2 shown]
	v_mul_f64 v[4:5], v[22:23], s[8:9]
	v_fma_f64 v[18:19], v[8:9], s[16:17], v[24:25]
	v_fma_f64 v[8:9], v[8:9], s[16:17], v[0:1]
	v_add_f64 v[30:31], v[10:11], v[30:31]
	v_fma_f64 v[10:11], v[26:27], s[16:17], v[16:17]
	s_mov_b32 s20, 0x9b97f4a8
	s_mov_b32 s21, 0x3fe9e377
	v_mul_f64 v[22:23], v[22:23], s[20:21]
	v_fma_f64 v[24:25], v[12:13], s[20:21], v[4:5]
	v_mul_f64 v[4:5], v[18:19], s[2:3]
	s_mov_b32 s23, 0xbfd3c6ef
	s_mov_b32 s22, s16
	v_mul_f64 v[18:19], v[18:19], s[16:17]
	v_mul_f64 v[16:17], v[8:9], s[2:3]
	s_mov_b32 s25, 0xbfe9e377
	s_mov_b32 s24, s20
	v_mul_f64 v[8:9], v[8:9], s[22:23]
	v_mul_f64 v[20:21], v[10:11], s[8:9]
	;; [unrolled: 1-line block ×3, first 2 shown]
	v_fma_f64 v[82:83], v[12:13], s[18:19], v[22:23]
	v_fma_f64 v[26:27], v[2:3], s[16:17], v[4:5]
	;; [unrolled: 1-line block ×4, first 2 shown]
	v_add_f64 v[0:1], v[32:33], v[92:93]
	v_fma_f64 v[94:95], v[6:7], s[10:11], v[8:9]
	v_fma_f64 v[78:79], v[14:15], s[24:25], v[20:21]
	;; [unrolled: 1-line block ×3, first 2 shown]
	v_add_f64 v[2:3], v[80:81], v[30:31]
	v_add_f64 v[4:5], v[36:37], v[24:25]
	;; [unrolled: 1-line block ×9, first 2 shown]
	v_add_f64 v[20:21], v[32:33], -v[92:93]
	v_add_f64 v[22:23], v[80:81], -v[30:31]
	;; [unrolled: 1-line block ×10, first 2 shown]
	s_waitcnt lgkmcnt(0)
	; wave barrier
	ds_write_b128 v132, v[0:3]
	ds_write_b128 v132, v[4:7] offset:176
	ds_write_b128 v132, v[8:11] offset:352
	;; [unrolled: 1-line block ×9, first 2 shown]
	s_waitcnt lgkmcnt(0)
	; wave barrier
	s_waitcnt lgkmcnt(0)
	ds_read_b128 v[0:3], v129 offset:1760
	ds_read_b128 v[4:7], v129
	ds_read_b128 v[8:11], v129 offset:880
	ds_read_b128 v[12:15], v129 offset:2640
	;; [unrolled: 1-line block ×4, first 2 shown]
	s_waitcnt lgkmcnt(5)
	v_mul_f64 v[72:73], v[62:63], v[2:3]
	v_mul_f64 v[62:63], v[62:63], v[0:1]
	ds_read_b128 v[24:27], v129 offset:5280
	ds_read_b128 v[28:31], v129 offset:6160
	s_waitcnt lgkmcnt(3)
	v_mul_f64 v[74:75], v[58:59], v[18:19]
	ds_read_b128 v[32:35], v129 offset:7040
	ds_read_b128 v[36:39], v129 offset:7920
	v_mul_f64 v[58:59], v[58:59], v[16:17]
	s_waitcnt lgkmcnt(3)
	v_mul_f64 v[76:77], v[50:51], v[26:27]
	v_fma_f64 v[72:73], v[60:61], v[0:1], v[72:73]
	v_mul_f64 v[0:1], v[50:51], v[24:25]
	v_fma_f64 v[50:51], v[60:61], v[2:3], -v[62:63]
	v_fma_f64 v[2:3], v[56:57], v[16:17], v[74:75]
	s_waitcnt lgkmcnt(1)
	v_mul_f64 v[16:17], v[42:43], v[34:35]
	v_fma_f64 v[18:19], v[56:57], v[18:19], -v[58:59]
	v_mul_f64 v[42:43], v[42:43], v[32:33]
	v_fma_f64 v[24:25], v[48:49], v[24:25], v[76:77]
	v_mul_f64 v[56:57], v[70:71], v[14:15]
	v_fma_f64 v[26:27], v[48:49], v[26:27], -v[0:1]
	v_mul_f64 v[0:1], v[70:71], v[12:13]
	v_mul_f64 v[48:49], v[66:67], v[22:23]
	v_fma_f64 v[16:17], v[40:41], v[32:33], v[16:17]
	v_add_f64 v[32:33], v[4:5], v[72:73]
	v_fma_f64 v[34:35], v[40:41], v[34:35], -v[42:43]
	v_add_f64 v[40:41], v[2:3], v[24:25]
	v_fma_f64 v[42:43], v[68:69], v[12:13], v[56:57]
	v_mul_f64 v[12:13], v[66:67], v[20:21]
	v_fma_f64 v[56:57], v[68:69], v[14:15], -v[0:1]
	v_fma_f64 v[48:49], v[64:65], v[20:21], v[48:49]
	v_mul_f64 v[0:1], v[54:55], v[30:31]
	v_add_f64 v[14:15], v[32:33], v[2:3]
	v_mul_f64 v[20:21], v[54:55], v[28:29]
	v_fma_f64 v[32:33], v[40:41], -0.5, v[4:5]
	v_add_f64 v[40:41], v[50:51], -v[34:35]
	v_fma_f64 v[54:55], v[64:65], v[22:23], -v[12:13]
	s_waitcnt lgkmcnt(0)
	v_mul_f64 v[12:13], v[46:47], v[38:39]
	v_mul_f64 v[22:23], v[46:47], v[36:37]
	v_add_f64 v[46:47], v[72:73], v[16:17]
	v_add_f64 v[14:15], v[14:15], v[24:25]
	v_fma_f64 v[28:29], v[52:53], v[28:29], v[0:1]
	v_fma_f64 v[30:31], v[52:53], v[30:31], -v[20:21]
	v_fma_f64 v[20:21], v[40:41], s[2:3], v[32:33]
	v_add_f64 v[52:53], v[18:19], -v[26:27]
	v_fma_f64 v[36:37], v[44:45], v[36:37], v[12:13]
	v_fma_f64 v[38:39], v[44:45], v[38:39], -v[22:23]
	v_fma_f64 v[4:5], v[46:47], -0.5, v[4:5]
	v_add_f64 v[0:1], v[14:15], v[16:17]
	v_add_f64 v[12:13], v[72:73], -v[2:3]
	v_add_f64 v[14:15], v[16:17], -v[24:25]
	v_fma_f64 v[22:23], v[40:41], s[10:11], v[32:33]
	v_add_f64 v[32:33], v[6:7], v[50:51]
	v_fma_f64 v[20:21], v[52:53], s[8:9], v[20:21]
	v_add_f64 v[44:45], v[18:19], v[26:27]
	v_fma_f64 v[46:47], v[52:53], s[10:11], v[4:5]
	v_add_f64 v[58:59], v[2:3], -v[72:73]
	v_add_f64 v[60:61], v[24:25], -v[16:17]
	v_add_f64 v[12:13], v[12:13], v[14:15]
	v_fma_f64 v[14:15], v[52:53], s[18:19], v[22:23]
	v_fma_f64 v[22:23], v[52:53], s[2:3], v[4:5]
	v_add_f64 v[32:33], v[32:33], v[18:19]
	v_fma_f64 v[44:45], v[44:45], -0.5, v[6:7]
	v_add_f64 v[52:53], v[72:73], -v[16:17]
	v_fma_f64 v[16:17], v[40:41], s[8:9], v[46:47]
	v_add_f64 v[46:47], v[58:59], v[60:61]
	v_fma_f64 v[4:5], v[12:13], s[16:17], v[20:21]
	v_fma_f64 v[12:13], v[12:13], s[16:17], v[14:15]
	;; [unrolled: 1-line block ×3, first 2 shown]
	v_add_f64 v[22:23], v[32:33], v[26:27]
	v_add_f64 v[32:33], v[50:51], v[34:35]
	v_add_f64 v[24:25], v[2:3], -v[24:25]
	v_add_f64 v[58:59], v[48:49], v[28:29]
	v_fma_f64 v[40:41], v[52:53], s[10:11], v[44:45]
	v_add_f64 v[60:61], v[50:51], -v[18:19]
	v_add_f64 v[62:63], v[34:35], -v[26:27]
	;; [unrolled: 1-line block ×3, first 2 shown]
	v_add_f64 v[2:3], v[22:23], v[34:35]
	v_fma_f64 v[6:7], v[32:33], -0.5, v[6:7]
	v_add_f64 v[22:23], v[8:9], v[42:43]
	v_fma_f64 v[32:33], v[58:59], -0.5, v[8:9]
	v_add_f64 v[26:27], v[26:27], -v[34:35]
	v_fma_f64 v[44:45], v[52:53], s[2:3], v[44:45]
	v_fma_f64 v[20:21], v[46:47], s[16:17], v[14:15]
	;; [unrolled: 1-line block ×3, first 2 shown]
	v_add_f64 v[40:41], v[56:57], -v[38:39]
	v_fma_f64 v[58:59], v[24:25], s[2:3], v[6:7]
	v_fma_f64 v[6:7], v[24:25], s[10:11], v[6:7]
	v_add_f64 v[22:23], v[22:23], v[48:49]
	v_add_f64 v[26:27], v[18:19], v[26:27]
	v_fma_f64 v[16:17], v[46:47], s[16:17], v[16:17]
	v_add_f64 v[46:47], v[60:61], v[62:63]
	v_add_f64 v[60:61], v[42:43], -v[48:49]
	v_add_f64 v[62:63], v[36:37], -v[28:29]
	v_fma_f64 v[58:59], v[52:53], s[18:19], v[58:59]
	v_fma_f64 v[52:53], v[52:53], s[8:9], v[6:7]
	;; [unrolled: 1-line block ×4, first 2 shown]
	v_add_f64 v[50:51], v[54:55], -v[30:31]
	v_add_f64 v[44:45], v[42:43], v[36:37]
	v_add_f64 v[64:65], v[22:23], v[28:29]
	;; [unrolled: 1-line block ×3, first 2 shown]
	v_fma_f64 v[18:19], v[26:27], s[16:17], v[58:59]
	v_fma_f64 v[22:23], v[26:27], s[16:17], v[52:53]
	v_add_f64 v[26:27], v[54:55], v[30:31]
	v_add_f64 v[52:53], v[56:57], v[38:39]
	v_fma_f64 v[6:7], v[46:47], s[16:17], v[14:15]
	v_fma_f64 v[14:15], v[46:47], s[16:17], v[24:25]
	v_add_f64 v[46:47], v[48:49], -v[42:43]
	v_add_f64 v[58:59], v[28:29], -v[36:37]
	v_add_f64 v[62:63], v[10:11], v[56:57]
	v_fma_f64 v[34:35], v[50:51], s[8:9], v[34:35]
	v_fma_f64 v[44:45], v[44:45], -0.5, v[8:9]
	v_add_f64 v[8:9], v[64:65], v[36:37]
	v_fma_f64 v[32:33], v[40:41], s[10:11], v[32:33]
	v_fma_f64 v[26:27], v[26:27], -0.5, v[10:11]
	v_add_f64 v[36:37], v[42:43], -v[36:37]
	v_add_f64 v[28:29], v[48:49], -v[28:29]
	v_fma_f64 v[10:11], v[52:53], -0.5, v[10:11]
	v_add_f64 v[42:43], v[46:47], v[58:59]
	v_add_f64 v[46:47], v[62:63], v[54:55]
	v_fma_f64 v[24:25], v[60:61], s[16:17], v[34:35]
	v_fma_f64 v[34:35], v[50:51], s[10:11], v[44:45]
	;; [unrolled: 1-line block ×5, first 2 shown]
	v_add_f64 v[50:51], v[56:57], -v[54:55]
	v_add_f64 v[52:53], v[38:39], -v[30:31]
	v_fma_f64 v[58:59], v[28:29], s[2:3], v[10:11]
	v_add_f64 v[54:55], v[54:55], -v[56:57]
	v_add_f64 v[56:57], v[30:31], -v[38:39]
	v_fma_f64 v[26:27], v[36:37], s[2:3], v[26:27]
	v_fma_f64 v[10:11], v[28:29], s[10:11], v[10:11]
	v_add_f64 v[30:31], v[46:47], v[30:31]
	v_fma_f64 v[34:35], v[40:41], s[8:9], v[34:35]
	v_fma_f64 v[40:41], v[40:41], s[18:19], v[44:45]
	;; [unrolled: 1-line block ×3, first 2 shown]
	v_add_f64 v[46:47], v[50:51], v[52:53]
	v_fma_f64 v[50:51], v[36:37], s[18:19], v[58:59]
	v_add_f64 v[52:53], v[54:55], v[56:57]
	v_fma_f64 v[48:49], v[28:29], s[8:9], v[26:27]
	v_fma_f64 v[54:55], v[36:37], s[8:9], v[10:11]
	v_add_f64 v[10:11], v[30:31], v[38:39]
	v_fma_f64 v[28:29], v[60:61], s[16:17], v[32:33]
	v_fma_f64 v[32:33], v[42:43], s[16:17], v[34:35]
	;; [unrolled: 1-line block ×7, first 2 shown]
	ds_write_b128 v129, v[0:3]
	ds_write_b128 v129, v[4:7] offset:1760
	ds_write_b128 v129, v[16:19] offset:3520
	;; [unrolled: 1-line block ×9, first 2 shown]
	s_waitcnt lgkmcnt(0)
	; wave barrier
	s_waitcnt lgkmcnt(0)
	s_and_b64 exec, exec, s[0:1]
	s_cbranch_execz .LBB0_15
; %bb.14:
	global_load_dwordx4 v[0:3], v129, s[14:15]
	global_load_dwordx4 v[4:7], v129, s[14:15] offset:800
	global_load_dwordx4 v[8:11], v129, s[14:15] offset:1600
	;; [unrolled: 1-line block ×4, first 2 shown]
	ds_read_b128 v[20:23], v129
	ds_read_b128 v[24:27], v129 offset:800
	ds_read_b128 v[28:31], v129 offset:1600
	;; [unrolled: 1-line block ×3, first 2 shown]
	global_load_dwordx4 v[36:39], v129, s[14:15] offset:4000
	v_mov_b32_e32 v52, s15
	v_mad_u64_u32 v[74:75], s[2:3], s4, v130, 0
	v_add_co_u32_e32 v53, vcc, s14, v129
	v_mad_u64_u32 v[72:73], s[0:1], s6, v116, 0
	s_mul_hi_u32 s6, s4, 0x320
	s_mul_i32 s2, s4, 0x320
	s_movk_i32 s4, 0x1000
	v_addc_co_u32_e32 v52, vcc, 0, v52, vcc
	v_add_co_u32_e32 v76, vcc, s4, v53
	v_addc_co_u32_e32 v77, vcc, 0, v52, vcc
	ds_read_b128 v[40:43], v129 offset:3200
	ds_read_b128 v[44:47], v129 offset:4000
	global_load_dwordx4 v[52:55], v[76:77], off offset:704
	global_load_dwordx4 v[56:59], v[76:77], off offset:1504
	s_mul_i32 s3, s5, 0x320
	v_mov_b32_e32 v60, v73
	v_mov_b32_e32 v61, v75
	s_add_i32 s3, s6, s3
	v_mad_u64_u32 v[78:79], s[6:7], s7, v116, v[60:61]
	ds_read_b128 v[48:51], v129 offset:8000
	v_mad_u64_u32 v[79:80], s[4:5], s5, v130, v[61:62]
	global_load_dwordx4 v[60:63], v[76:77], off offset:2304
	global_load_dwordx4 v[64:67], v[76:77], off offset:3104
	;; [unrolled: 1-line block ×3, first 2 shown]
	v_mov_b32_e32 v73, v78
	v_lshlrev_b64 v[72:73], 4, v[72:73]
	v_mov_b32_e32 v75, v79
	v_mov_b32_e32 v81, s13
	v_lshlrev_b64 v[74:75], 4, v[74:75]
	v_add_co_u32_e32 v72, vcc, s12, v72
	v_addc_co_u32_e32 v73, vcc, v81, v73, vcc
	v_add_co_u32_e32 v72, vcc, v72, v74
	v_addc_co_u32_e32 v73, vcc, v73, v75, vcc
	v_mov_b32_e32 v82, s3
	v_add_co_u32_e32 v74, vcc, s2, v72
	v_addc_co_u32_e32 v75, vcc, v73, v82, vcc
	v_mov_b32_e32 v83, s3
	;; [unrolled: 3-line block ×3, first 2 shown]
	v_add_co_u32_e32 v78, vcc, s2, v76
	v_addc_co_u32_e32 v79, vcc, v77, v84, vcc
	s_mov_b32 s0, 0xdca01dca
	s_mov_b32 s1, 0x3f5dca01
	s_waitcnt vmcnt(10) lgkmcnt(6)
	v_mul_f64 v[80:81], v[22:23], v[2:3]
	v_mul_f64 v[2:3], v[20:21], v[2:3]
	s_waitcnt vmcnt(9) lgkmcnt(5)
	v_mul_f64 v[82:83], v[26:27], v[6:7]
	v_mul_f64 v[6:7], v[24:25], v[6:7]
	;; [unrolled: 3-line block ×4, first 2 shown]
	v_fma_f64 v[20:21], v[20:21], v[0:1], v[80:81]
	v_fma_f64 v[2:3], v[0:1], v[22:23], -v[2:3]
	v_fma_f64 v[22:23], v[24:25], v[4:5], v[82:83]
	v_fma_f64 v[6:7], v[4:5], v[26:27], -v[6:7]
	;; [unrolled: 2-line block ×4, first 2 shown]
	s_waitcnt vmcnt(6) lgkmcnt(2)
	v_mul_f64 v[88:89], v[42:43], v[18:19]
	v_mul_f64 v[18:19], v[40:41], v[18:19]
	;; [unrolled: 1-line block ×10, first 2 shown]
	v_fma_f64 v[20:21], v[40:41], v[16:17], v[88:89]
	v_fma_f64 v[16:17], v[16:17], v[42:43], -v[18:19]
	s_waitcnt vmcnt(5) lgkmcnt(1)
	v_mul_f64 v[18:19], v[46:47], v[38:39]
	v_mul_f64 v[22:23], v[44:45], v[38:39]
	global_store_dwordx4 v[72:73], v[0:3], off
	global_store_dwordx4 v[74:75], v[4:7], off
	;; [unrolled: 1-line block ×4, first 2 shown]
	ds_read_b128 v[4:7], v129 offset:4800
	ds_read_b128 v[8:11], v129 offset:5600
	v_mul_f64 v[0:1], v[20:21], s[0:1]
	v_mul_f64 v[2:3], v[16:17], s[0:1]
	v_fma_f64 v[12:13], v[44:45], v[36:37], v[18:19]
	v_fma_f64 v[14:15], v[36:37], v[46:47], -v[22:23]
	s_waitcnt vmcnt(8) lgkmcnt(1)
	v_mul_f64 v[16:17], v[6:7], v[54:55]
	v_mul_f64 v[18:19], v[4:5], v[54:55]
	v_mov_b32_e32 v21, s3
	v_add_co_u32_e32 v20, vcc, s2, v78
	v_addc_co_u32_e32 v21, vcc, v79, v21, vcc
	global_store_dwordx4 v[20:21], v[0:3], off
	v_fma_f64 v[4:5], v[4:5], v[52:53], v[16:17]
	v_mul_f64 v[0:1], v[12:13], s[0:1]
	v_mul_f64 v[2:3], v[14:15], s[0:1]
	v_fma_f64 v[6:7], v[52:53], v[6:7], -v[18:19]
	s_waitcnt vmcnt(8) lgkmcnt(0)
	v_mul_f64 v[12:13], v[10:11], v[58:59]
	v_mul_f64 v[14:15], v[8:9], v[58:59]
	v_mov_b32_e32 v22, s3
	v_add_co_u32_e32 v16, vcc, s2, v20
	v_addc_co_u32_e32 v17, vcc, v21, v22, vcc
	global_store_dwordx4 v[16:17], v[0:3], off
	v_fma_f64 v[12:13], v[8:9], v[56:57], v[12:13]
	v_mul_f64 v[0:1], v[4:5], s[0:1]
	v_mul_f64 v[2:3], v[6:7], s[0:1]
	ds_read_b128 v[4:7], v129 offset:6400
	v_fma_f64 v[14:15], v[56:57], v[10:11], -v[14:15]
	ds_read_b128 v[8:11], v129 offset:7200
	v_add_co_u32_e32 v16, vcc, s2, v16
	s_waitcnt vmcnt(8) lgkmcnt(1)
	v_mul_f64 v[18:19], v[6:7], v[62:63]
	v_mul_f64 v[20:21], v[4:5], v[62:63]
	v_addc_co_u32_e32 v17, vcc, v17, v22, vcc
	global_store_dwordx4 v[16:17], v[0:3], off
	v_fma_f64 v[4:5], v[4:5], v[60:61], v[18:19]
	v_mul_f64 v[0:1], v[12:13], s[0:1]
	v_mov_b32_e32 v13, s3
	v_add_co_u32_e32 v12, vcc, s2, v16
	v_mul_f64 v[2:3], v[14:15], s[0:1]
	v_fma_f64 v[6:7], v[60:61], v[6:7], -v[20:21]
	v_addc_co_u32_e32 v13, vcc, v17, v13, vcc
	s_waitcnt vmcnt(8) lgkmcnt(0)
	v_mul_f64 v[14:15], v[10:11], v[66:67]
	v_mul_f64 v[16:17], v[8:9], v[66:67]
	s_waitcnt vmcnt(7)
	v_mul_f64 v[18:19], v[50:51], v[70:71]
	v_mul_f64 v[20:21], v[48:49], v[70:71]
	global_store_dwordx4 v[12:13], v[0:3], off
	v_add_co_u32_e32 v12, vcc, s2, v12
	v_mul_f64 v[0:1], v[4:5], s[0:1]
	v_mul_f64 v[2:3], v[6:7], s[0:1]
	v_fma_f64 v[4:5], v[8:9], v[64:65], v[14:15]
	v_fma_f64 v[6:7], v[64:65], v[10:11], -v[16:17]
	v_fma_f64 v[8:9], v[48:49], v[68:69], v[18:19]
	v_fma_f64 v[10:11], v[68:69], v[50:51], -v[20:21]
	v_addc_co_u32_e32 v13, vcc, v13, v22, vcc
	v_mov_b32_e32 v14, s3
	global_store_dwordx4 v[12:13], v[0:3], off
	s_nop 0
	v_mul_f64 v[0:1], v[4:5], s[0:1]
	v_mul_f64 v[2:3], v[6:7], s[0:1]
	;; [unrolled: 1-line block ×4, first 2 shown]
	v_add_co_u32_e32 v8, vcc, s2, v12
	v_addc_co_u32_e32 v9, vcc, v13, v14, vcc
	global_store_dwordx4 v[8:9], v[0:3], off
	s_nop 0
	v_mov_b32_e32 v1, s3
	v_add_co_u32_e32 v0, vcc, s2, v8
	v_addc_co_u32_e32 v1, vcc, v9, v1, vcc
	global_store_dwordx4 v[0:1], v[4:7], off
.LBB0_15:
	s_endpgm
	.section	.rodata,"a",@progbits
	.p2align	6, 0x0
	.amdhsa_kernel bluestein_single_back_len550_dim1_dp_op_CI_CI
		.amdhsa_group_segment_fixed_size 8800
		.amdhsa_private_segment_fixed_size 0
		.amdhsa_kernarg_size 104
		.amdhsa_user_sgpr_count 6
		.amdhsa_user_sgpr_private_segment_buffer 1
		.amdhsa_user_sgpr_dispatch_ptr 0
		.amdhsa_user_sgpr_queue_ptr 0
		.amdhsa_user_sgpr_kernarg_segment_ptr 1
		.amdhsa_user_sgpr_dispatch_id 0
		.amdhsa_user_sgpr_flat_scratch_init 0
		.amdhsa_user_sgpr_private_segment_size 0
		.amdhsa_uses_dynamic_stack 0
		.amdhsa_system_sgpr_private_segment_wavefront_offset 0
		.amdhsa_system_sgpr_workgroup_id_x 1
		.amdhsa_system_sgpr_workgroup_id_y 0
		.amdhsa_system_sgpr_workgroup_id_z 0
		.amdhsa_system_sgpr_workgroup_info 0
		.amdhsa_system_vgpr_workitem_id 0
		.amdhsa_next_free_vgpr 227
		.amdhsa_next_free_sgpr 44
		.amdhsa_reserve_vcc 1
		.amdhsa_reserve_flat_scratch 0
		.amdhsa_float_round_mode_32 0
		.amdhsa_float_round_mode_16_64 0
		.amdhsa_float_denorm_mode_32 3
		.amdhsa_float_denorm_mode_16_64 3
		.amdhsa_dx10_clamp 1
		.amdhsa_ieee_mode 1
		.amdhsa_fp16_overflow 0
		.amdhsa_exception_fp_ieee_invalid_op 0
		.amdhsa_exception_fp_denorm_src 0
		.amdhsa_exception_fp_ieee_div_zero 0
		.amdhsa_exception_fp_ieee_overflow 0
		.amdhsa_exception_fp_ieee_underflow 0
		.amdhsa_exception_fp_ieee_inexact 0
		.amdhsa_exception_int_div_zero 0
	.end_amdhsa_kernel
	.text
.Lfunc_end0:
	.size	bluestein_single_back_len550_dim1_dp_op_CI_CI, .Lfunc_end0-bluestein_single_back_len550_dim1_dp_op_CI_CI
                                        ; -- End function
	.section	.AMDGPU.csdata,"",@progbits
; Kernel info:
; codeLenInByte = 15012
; NumSgprs: 48
; NumVgprs: 227
; ScratchSize: 0
; MemoryBound: 0
; FloatMode: 240
; IeeeMode: 1
; LDSByteSize: 8800 bytes/workgroup (compile time only)
; SGPRBlocks: 5
; VGPRBlocks: 56
; NumSGPRsForWavesPerEU: 48
; NumVGPRsForWavesPerEU: 227
; Occupancy: 1
; WaveLimiterHint : 1
; COMPUTE_PGM_RSRC2:SCRATCH_EN: 0
; COMPUTE_PGM_RSRC2:USER_SGPR: 6
; COMPUTE_PGM_RSRC2:TRAP_HANDLER: 0
; COMPUTE_PGM_RSRC2:TGID_X_EN: 1
; COMPUTE_PGM_RSRC2:TGID_Y_EN: 0
; COMPUTE_PGM_RSRC2:TGID_Z_EN: 0
; COMPUTE_PGM_RSRC2:TIDIG_COMP_CNT: 0
	.type	__hip_cuid_b55fefc8d5ca9284,@object ; @__hip_cuid_b55fefc8d5ca9284
	.section	.bss,"aw",@nobits
	.globl	__hip_cuid_b55fefc8d5ca9284
__hip_cuid_b55fefc8d5ca9284:
	.byte	0                               ; 0x0
	.size	__hip_cuid_b55fefc8d5ca9284, 1

	.ident	"AMD clang version 19.0.0git (https://github.com/RadeonOpenCompute/llvm-project roc-6.4.0 25133 c7fe45cf4b819c5991fe208aaa96edf142730f1d)"
	.section	".note.GNU-stack","",@progbits
	.addrsig
	.addrsig_sym __hip_cuid_b55fefc8d5ca9284
	.amdgpu_metadata
---
amdhsa.kernels:
  - .args:
      - .actual_access:  read_only
        .address_space:  global
        .offset:         0
        .size:           8
        .value_kind:     global_buffer
      - .actual_access:  read_only
        .address_space:  global
        .offset:         8
        .size:           8
        .value_kind:     global_buffer
      - .actual_access:  read_only
        .address_space:  global
        .offset:         16
        .size:           8
        .value_kind:     global_buffer
      - .actual_access:  read_only
        .address_space:  global
        .offset:         24
        .size:           8
        .value_kind:     global_buffer
      - .actual_access:  read_only
        .address_space:  global
        .offset:         32
        .size:           8
        .value_kind:     global_buffer
      - .offset:         40
        .size:           8
        .value_kind:     by_value
      - .address_space:  global
        .offset:         48
        .size:           8
        .value_kind:     global_buffer
      - .address_space:  global
        .offset:         56
        .size:           8
        .value_kind:     global_buffer
      - .address_space:  global
        .offset:         64
        .size:           8
        .value_kind:     global_buffer
      - .address_space:  global
        .offset:         72
        .size:           8
        .value_kind:     global_buffer
      - .offset:         80
        .size:           4
        .value_kind:     by_value
      - .address_space:  global
        .offset:         88
        .size:           8
        .value_kind:     global_buffer
      - .address_space:  global
        .offset:         96
        .size:           8
        .value_kind:     global_buffer
    .group_segment_fixed_size: 8800
    .kernarg_segment_align: 8
    .kernarg_segment_size: 104
    .language:       OpenCL C
    .language_version:
      - 2
      - 0
    .max_flat_workgroup_size: 55
    .name:           bluestein_single_back_len550_dim1_dp_op_CI_CI
    .private_segment_fixed_size: 0
    .sgpr_count:     48
    .sgpr_spill_count: 0
    .symbol:         bluestein_single_back_len550_dim1_dp_op_CI_CI.kd
    .uniform_work_group_size: 1
    .uses_dynamic_stack: false
    .vgpr_count:     227
    .vgpr_spill_count: 0
    .wavefront_size: 64
amdhsa.target:   amdgcn-amd-amdhsa--gfx906
amdhsa.version:
  - 1
  - 2
...

	.end_amdgpu_metadata
